;; amdgpu-corpus repo=ROCm/rocFFT kind=compiled arch=gfx1201 opt=O3
	.text
	.amdgcn_target "amdgcn-amd-amdhsa--gfx1201"
	.amdhsa_code_object_version 6
	.protected	fft_rtc_fwd_len572_factors_13_11_4_wgs_52_tpt_52_dp_op_CI_CI_unitstride_sbrr_R2C_dirReg ; -- Begin function fft_rtc_fwd_len572_factors_13_11_4_wgs_52_tpt_52_dp_op_CI_CI_unitstride_sbrr_R2C_dirReg
	.globl	fft_rtc_fwd_len572_factors_13_11_4_wgs_52_tpt_52_dp_op_CI_CI_unitstride_sbrr_R2C_dirReg
	.p2align	8
	.type	fft_rtc_fwd_len572_factors_13_11_4_wgs_52_tpt_52_dp_op_CI_CI_unitstride_sbrr_R2C_dirReg,@function
fft_rtc_fwd_len572_factors_13_11_4_wgs_52_tpt_52_dp_op_CI_CI_unitstride_sbrr_R2C_dirReg: ; @fft_rtc_fwd_len572_factors_13_11_4_wgs_52_tpt_52_dp_op_CI_CI_unitstride_sbrr_R2C_dirReg
; %bb.0:
	s_clause 0x2
	s_load_b128 s[8:11], s[0:1], 0x0
	s_load_b128 s[4:7], s[0:1], 0x58
	;; [unrolled: 1-line block ×3, first 2 shown]
	v_mul_u32_u24_e32 v1, 0x4ed, v0
	v_mov_b32_e32 v3, 0
	s_delay_alu instid0(VALU_DEP_2) | instskip(NEXT) | instid1(VALU_DEP_1)
	v_lshrrev_b32_e32 v1, 16, v1
	v_add_nc_u32_e32 v5, ttmp9, v1
	v_mov_b32_e32 v1, 0
	v_mov_b32_e32 v2, 0
	;; [unrolled: 1-line block ×3, first 2 shown]
	s_wait_kmcnt 0x0
	v_cmp_lt_u64_e64 s2, s[10:11], 2
	s_delay_alu instid0(VALU_DEP_1)
	s_and_b32 vcc_lo, exec_lo, s2
	s_cbranch_vccnz .LBB0_8
; %bb.1:
	s_load_b64 s[2:3], s[0:1], 0x10
	v_mov_b32_e32 v1, 0
	v_mov_b32_e32 v2, 0
	s_add_nc_u64 s[16:17], s[14:15], 8
	s_add_nc_u64 s[18:19], s[12:13], 8
	s_mov_b64 s[20:21], 1
	s_delay_alu instid0(VALU_DEP_1)
	v_dual_mov_b32 v57, v2 :: v_dual_mov_b32 v56, v1
	s_wait_kmcnt 0x0
	s_add_nc_u64 s[22:23], s[2:3], 8
	s_mov_b32 s3, 0
.LBB0_2:                                ; =>This Inner Loop Header: Depth=1
	s_load_b64 s[24:25], s[22:23], 0x0
                                        ; implicit-def: $vgpr60_vgpr61
	s_mov_b32 s2, exec_lo
	s_wait_kmcnt 0x0
	v_or_b32_e32 v4, s25, v6
	s_delay_alu instid0(VALU_DEP_1)
	v_cmpx_ne_u64_e32 0, v[3:4]
	s_wait_alu 0xfffe
	s_xor_b32 s26, exec_lo, s2
	s_cbranch_execz .LBB0_4
; %bb.3:                                ;   in Loop: Header=BB0_2 Depth=1
	s_cvt_f32_u32 s2, s24
	s_cvt_f32_u32 s27, s25
	s_sub_nc_u64 s[30:31], 0, s[24:25]
	s_wait_alu 0xfffe
	s_delay_alu instid0(SALU_CYCLE_1) | instskip(SKIP_1) | instid1(SALU_CYCLE_2)
	s_fmamk_f32 s2, s27, 0x4f800000, s2
	s_wait_alu 0xfffe
	v_s_rcp_f32 s2, s2
	s_delay_alu instid0(TRANS32_DEP_1) | instskip(SKIP_1) | instid1(SALU_CYCLE_2)
	s_mul_f32 s2, s2, 0x5f7ffffc
	s_wait_alu 0xfffe
	s_mul_f32 s27, s2, 0x2f800000
	s_wait_alu 0xfffe
	s_delay_alu instid0(SALU_CYCLE_2) | instskip(SKIP_1) | instid1(SALU_CYCLE_2)
	s_trunc_f32 s27, s27
	s_wait_alu 0xfffe
	s_fmamk_f32 s2, s27, 0xcf800000, s2
	s_cvt_u32_f32 s29, s27
	s_wait_alu 0xfffe
	s_delay_alu instid0(SALU_CYCLE_1) | instskip(SKIP_1) | instid1(SALU_CYCLE_2)
	s_cvt_u32_f32 s28, s2
	s_wait_alu 0xfffe
	s_mul_u64 s[34:35], s[30:31], s[28:29]
	s_wait_alu 0xfffe
	s_mul_hi_u32 s37, s28, s35
	s_mul_i32 s36, s28, s35
	s_mul_hi_u32 s2, s28, s34
	s_mul_i32 s33, s29, s34
	s_wait_alu 0xfffe
	s_add_nc_u64 s[36:37], s[2:3], s[36:37]
	s_mul_hi_u32 s27, s29, s34
	s_mul_hi_u32 s38, s29, s35
	s_add_co_u32 s2, s36, s33
	s_wait_alu 0xfffe
	s_add_co_ci_u32 s2, s37, s27
	s_mul_i32 s34, s29, s35
	s_add_co_ci_u32 s35, s38, 0
	s_wait_alu 0xfffe
	s_add_nc_u64 s[34:35], s[2:3], s[34:35]
	s_wait_alu 0xfffe
	v_add_co_u32 v4, s2, s28, s34
	s_delay_alu instid0(VALU_DEP_1) | instskip(SKIP_1) | instid1(VALU_DEP_1)
	s_cmp_lg_u32 s2, 0
	s_add_co_ci_u32 s29, s29, s35
	v_readfirstlane_b32 s28, v4
	s_wait_alu 0xfffe
	s_delay_alu instid0(VALU_DEP_1)
	s_mul_u64 s[30:31], s[30:31], s[28:29]
	s_wait_alu 0xfffe
	s_mul_hi_u32 s35, s28, s31
	s_mul_i32 s34, s28, s31
	s_mul_hi_u32 s2, s28, s30
	s_mul_i32 s33, s29, s30
	s_wait_alu 0xfffe
	s_add_nc_u64 s[34:35], s[2:3], s[34:35]
	s_mul_hi_u32 s27, s29, s30
	s_mul_hi_u32 s28, s29, s31
	s_wait_alu 0xfffe
	s_add_co_u32 s2, s34, s33
	s_add_co_ci_u32 s2, s35, s27
	s_mul_i32 s30, s29, s31
	s_add_co_ci_u32 s31, s28, 0
	s_wait_alu 0xfffe
	s_add_nc_u64 s[30:31], s[2:3], s[30:31]
	s_wait_alu 0xfffe
	v_add_co_u32 v4, s2, v4, s30
	s_delay_alu instid0(VALU_DEP_1) | instskip(SKIP_1) | instid1(VALU_DEP_1)
	s_cmp_lg_u32 s2, 0
	s_add_co_ci_u32 s2, s29, s31
	v_mul_hi_u32 v13, v5, v4
	s_wait_alu 0xfffe
	v_mad_co_u64_u32 v[7:8], null, v5, s2, 0
	v_mad_co_u64_u32 v[9:10], null, v6, v4, 0
	;; [unrolled: 1-line block ×3, first 2 shown]
	s_delay_alu instid0(VALU_DEP_3) | instskip(SKIP_1) | instid1(VALU_DEP_4)
	v_add_co_u32 v4, vcc_lo, v13, v7
	s_wait_alu 0xfffd
	v_add_co_ci_u32_e32 v7, vcc_lo, 0, v8, vcc_lo
	s_delay_alu instid0(VALU_DEP_2) | instskip(SKIP_1) | instid1(VALU_DEP_2)
	v_add_co_u32 v4, vcc_lo, v4, v9
	s_wait_alu 0xfffd
	v_add_co_ci_u32_e32 v4, vcc_lo, v7, v10, vcc_lo
	s_wait_alu 0xfffd
	v_add_co_ci_u32_e32 v7, vcc_lo, 0, v12, vcc_lo
	s_delay_alu instid0(VALU_DEP_2) | instskip(SKIP_1) | instid1(VALU_DEP_2)
	v_add_co_u32 v4, vcc_lo, v4, v11
	s_wait_alu 0xfffd
	v_add_co_ci_u32_e32 v9, vcc_lo, 0, v7, vcc_lo
	s_delay_alu instid0(VALU_DEP_2) | instskip(SKIP_1) | instid1(VALU_DEP_3)
	v_mul_lo_u32 v10, s25, v4
	v_mad_co_u64_u32 v[7:8], null, s24, v4, 0
	v_mul_lo_u32 v11, s24, v9
	s_delay_alu instid0(VALU_DEP_2) | instskip(NEXT) | instid1(VALU_DEP_2)
	v_sub_co_u32 v7, vcc_lo, v5, v7
	v_add3_u32 v8, v8, v11, v10
	s_delay_alu instid0(VALU_DEP_1) | instskip(SKIP_1) | instid1(VALU_DEP_1)
	v_sub_nc_u32_e32 v10, v6, v8
	s_wait_alu 0xfffd
	v_subrev_co_ci_u32_e64 v10, s2, s25, v10, vcc_lo
	v_add_co_u32 v11, s2, v4, 2
	s_wait_alu 0xf1ff
	v_add_co_ci_u32_e64 v12, s2, 0, v9, s2
	v_sub_co_u32 v13, s2, v7, s24
	v_sub_co_ci_u32_e32 v8, vcc_lo, v6, v8, vcc_lo
	s_wait_alu 0xf1ff
	v_subrev_co_ci_u32_e64 v10, s2, 0, v10, s2
	s_delay_alu instid0(VALU_DEP_3) | instskip(NEXT) | instid1(VALU_DEP_3)
	v_cmp_le_u32_e32 vcc_lo, s24, v13
	v_cmp_eq_u32_e64 s2, s25, v8
	s_wait_alu 0xfffd
	v_cndmask_b32_e64 v13, 0, -1, vcc_lo
	v_cmp_le_u32_e32 vcc_lo, s25, v10
	s_wait_alu 0xfffd
	v_cndmask_b32_e64 v14, 0, -1, vcc_lo
	v_cmp_le_u32_e32 vcc_lo, s24, v7
	;; [unrolled: 3-line block ×3, first 2 shown]
	s_wait_alu 0xfffd
	v_cndmask_b32_e64 v15, 0, -1, vcc_lo
	v_cmp_eq_u32_e32 vcc_lo, s25, v10
	s_wait_alu 0xf1ff
	s_delay_alu instid0(VALU_DEP_2)
	v_cndmask_b32_e64 v7, v15, v7, s2
	s_wait_alu 0xfffd
	v_cndmask_b32_e32 v10, v14, v13, vcc_lo
	v_add_co_u32 v13, vcc_lo, v4, 1
	s_wait_alu 0xfffd
	v_add_co_ci_u32_e32 v14, vcc_lo, 0, v9, vcc_lo
	s_delay_alu instid0(VALU_DEP_3) | instskip(SKIP_1) | instid1(VALU_DEP_2)
	v_cmp_ne_u32_e32 vcc_lo, 0, v10
	s_wait_alu 0xfffd
	v_cndmask_b32_e32 v8, v14, v12, vcc_lo
	v_cndmask_b32_e32 v10, v13, v11, vcc_lo
	v_cmp_ne_u32_e32 vcc_lo, 0, v7
	s_wait_alu 0xfffd
	s_delay_alu instid0(VALU_DEP_2)
	v_dual_cndmask_b32 v61, v9, v8 :: v_dual_cndmask_b32 v60, v4, v10
.LBB0_4:                                ;   in Loop: Header=BB0_2 Depth=1
	s_wait_alu 0xfffe
	s_and_not1_saveexec_b32 s2, s26
	s_cbranch_execz .LBB0_6
; %bb.5:                                ;   in Loop: Header=BB0_2 Depth=1
	v_cvt_f32_u32_e32 v4, s24
	s_sub_co_i32 s26, 0, s24
	v_mov_b32_e32 v61, v3
	s_delay_alu instid0(VALU_DEP_2) | instskip(NEXT) | instid1(TRANS32_DEP_1)
	v_rcp_iflag_f32_e32 v4, v4
	v_mul_f32_e32 v4, 0x4f7ffffe, v4
	s_delay_alu instid0(VALU_DEP_1) | instskip(SKIP_1) | instid1(VALU_DEP_1)
	v_cvt_u32_f32_e32 v4, v4
	s_wait_alu 0xfffe
	v_mul_lo_u32 v7, s26, v4
	s_delay_alu instid0(VALU_DEP_1) | instskip(NEXT) | instid1(VALU_DEP_1)
	v_mul_hi_u32 v7, v4, v7
	v_add_nc_u32_e32 v4, v4, v7
	s_delay_alu instid0(VALU_DEP_1) | instskip(NEXT) | instid1(VALU_DEP_1)
	v_mul_hi_u32 v4, v5, v4
	v_mul_lo_u32 v7, v4, s24
	v_add_nc_u32_e32 v8, 1, v4
	s_delay_alu instid0(VALU_DEP_2) | instskip(NEXT) | instid1(VALU_DEP_1)
	v_sub_nc_u32_e32 v7, v5, v7
	v_subrev_nc_u32_e32 v9, s24, v7
	v_cmp_le_u32_e32 vcc_lo, s24, v7
	s_wait_alu 0xfffd
	s_delay_alu instid0(VALU_DEP_2) | instskip(NEXT) | instid1(VALU_DEP_1)
	v_dual_cndmask_b32 v7, v7, v9 :: v_dual_cndmask_b32 v4, v4, v8
	v_cmp_le_u32_e32 vcc_lo, s24, v7
	s_delay_alu instid0(VALU_DEP_2) | instskip(SKIP_1) | instid1(VALU_DEP_1)
	v_add_nc_u32_e32 v8, 1, v4
	s_wait_alu 0xfffd
	v_cndmask_b32_e32 v60, v4, v8, vcc_lo
.LBB0_6:                                ;   in Loop: Header=BB0_2 Depth=1
	s_wait_alu 0xfffe
	s_or_b32 exec_lo, exec_lo, s2
	v_mul_lo_u32 v4, v61, s24
	s_delay_alu instid0(VALU_DEP_2)
	v_mul_lo_u32 v9, v60, s25
	s_load_b64 s[26:27], s[18:19], 0x0
	v_mad_co_u64_u32 v[7:8], null, v60, s24, 0
	s_load_b64 s[24:25], s[16:17], 0x0
	s_add_nc_u64 s[20:21], s[20:21], 1
	s_add_nc_u64 s[16:17], s[16:17], 8
	s_wait_alu 0xfffe
	v_cmp_ge_u64_e64 s2, s[20:21], s[10:11]
	s_add_nc_u64 s[18:19], s[18:19], 8
	s_add_nc_u64 s[22:23], s[22:23], 8
	v_add3_u32 v4, v8, v9, v4
	v_sub_co_u32 v5, vcc_lo, v5, v7
	s_wait_alu 0xfffd
	s_delay_alu instid0(VALU_DEP_2) | instskip(SKIP_2) | instid1(VALU_DEP_1)
	v_sub_co_ci_u32_e32 v4, vcc_lo, v6, v4, vcc_lo
	s_and_b32 vcc_lo, exec_lo, s2
	s_wait_kmcnt 0x0
	v_mul_lo_u32 v6, s26, v4
	v_mul_lo_u32 v7, s27, v5
	v_mad_co_u64_u32 v[1:2], null, s26, v5, v[1:2]
	v_mul_lo_u32 v4, s24, v4
	v_mul_lo_u32 v8, s25, v5
	v_mad_co_u64_u32 v[56:57], null, s24, v5, v[56:57]
	s_delay_alu instid0(VALU_DEP_4) | instskip(NEXT) | instid1(VALU_DEP_2)
	v_add3_u32 v2, v7, v2, v6
	v_add3_u32 v57, v8, v57, v4
	s_wait_alu 0xfffe
	s_cbranch_vccnz .LBB0_9
; %bb.7:                                ;   in Loop: Header=BB0_2 Depth=1
	v_dual_mov_b32 v5, v60 :: v_dual_mov_b32 v6, v61
	s_branch .LBB0_2
.LBB0_8:
	v_dual_mov_b32 v57, v2 :: v_dual_mov_b32 v56, v1
	v_dual_mov_b32 v61, v6 :: v_dual_mov_b32 v60, v5
.LBB0_9:
	s_load_b64 s[0:1], s[0:1], 0x28
	v_mul_hi_u32 v3, 0x4ec4ec5, v0
                                        ; implicit-def: $vgpr58
	s_wait_kmcnt 0x0
	s_delay_alu instid0(VALU_DEP_2) | instskip(SKIP_1) | instid1(VALU_DEP_1)
	v_cmp_gt_u64_e32 vcc_lo, s[0:1], v[60:61]
	v_cmp_le_u64_e64 s0, s[0:1], v[60:61]
	s_and_saveexec_b32 s1, s0
	s_wait_alu 0xfffe
	s_xor_b32 s0, exec_lo, s1
; %bb.10:
	s_delay_alu instid0(VALU_DEP_3) | instskip(NEXT) | instid1(VALU_DEP_1)
	v_mul_u32_u24_e32 v1, 52, v3
                                        ; implicit-def: $vgpr3
	v_sub_nc_u32_e32 v58, v0, v1
                                        ; implicit-def: $vgpr0
                                        ; implicit-def: $vgpr1_vgpr2
; %bb.11:
	s_wait_alu 0xfffe
	s_or_saveexec_b32 s1, s0
	s_lshl_b64 s[2:3], s[10:11], 3
	s_wait_alu 0xfffe
	s_xor_b32 exec_lo, exec_lo, s1
	s_cbranch_execz .LBB0_13
; %bb.12:
	s_add_nc_u64 s[10:11], s[12:13], s[2:3]
	v_lshlrev_b64_e32 v[1:2], 4, v[1:2]
	s_load_b64 s[10:11], s[10:11], 0x0
	s_wait_kmcnt 0x0
	v_mul_lo_u32 v6, s11, v60
	v_mul_lo_u32 v7, s10, v61
	v_mad_co_u64_u32 v[4:5], null, s10, v60, 0
	s_delay_alu instid0(VALU_DEP_1) | instskip(SKIP_1) | instid1(VALU_DEP_2)
	v_add3_u32 v5, v5, v7, v6
	v_mul_u32_u24_e32 v6, 52, v3
	v_lshlrev_b64_e32 v[3:4], 4, v[4:5]
	s_delay_alu instid0(VALU_DEP_2) | instskip(NEXT) | instid1(VALU_DEP_1)
	v_sub_nc_u32_e32 v58, v0, v6
	v_lshlrev_b32_e32 v44, 4, v58
	s_delay_alu instid0(VALU_DEP_3) | instskip(SKIP_1) | instid1(VALU_DEP_4)
	v_add_co_u32 v0, s0, s4, v3
	s_wait_alu 0xf1ff
	v_add_co_ci_u32_e64 v3, s0, s5, v4, s0
	s_delay_alu instid0(VALU_DEP_2) | instskip(SKIP_1) | instid1(VALU_DEP_2)
	v_add_co_u32 v0, s0, v0, v1
	s_wait_alu 0xf1ff
	v_add_co_ci_u32_e64 v1, s0, v3, v2, s0
	s_delay_alu instid0(VALU_DEP_2) | instskip(SKIP_1) | instid1(VALU_DEP_2)
	v_add_co_u32 v40, s0, v0, v44
	s_wait_alu 0xf1ff
	v_add_co_ci_u32_e64 v41, s0, 0, v1, s0
	s_clause 0xa
	global_load_b128 v[0:3], v[40:41], off
	global_load_b128 v[4:7], v[40:41], off offset:832
	global_load_b128 v[8:11], v[40:41], off offset:1664
	;; [unrolled: 1-line block ×10, first 2 shown]
	v_add_nc_u32_e32 v44, 0, v44
	s_wait_loadcnt 0xa
	ds_store_b128 v44, v[0:3]
	s_wait_loadcnt 0x9
	ds_store_b128 v44, v[4:7] offset:832
	s_wait_loadcnt 0x8
	ds_store_b128 v44, v[8:11] offset:1664
	;; [unrolled: 2-line block ×10, first 2 shown]
.LBB0_13:
	s_or_b32 exec_lo, exec_lo, s1
	v_lshl_add_u32 v134, v58, 4, 0
	global_wb scope:SCOPE_SE
	s_wait_dscnt 0x0
	s_barrier_signal -1
	s_barrier_wait -1
	global_inv scope:SCOPE_SE
	ds_load_b128 v[4:7], v134 offset:8448
	ds_load_b128 v[44:47], v134 offset:704
	ds_load_b128 v[24:27], v134
	ds_load_b128 v[8:11], v134 offset:7744
	ds_load_b128 v[52:55], v134 offset:1408
	s_mov_b32 s16, 0x42a4c3d2
	s_mov_b32 s17, 0xbfea55e2
	ds_load_b128 v[48:51], v134 offset:2112
	ds_load_b128 v[12:15], v134 offset:7040
	s_mov_b32 s4, 0x1ea71119
	s_mov_b32 s20, 0x2ef20147
	s_mov_b32 s5, 0x3fe22d96
	s_mov_b32 s21, 0xbfedeba7
	ds_load_b128 v[16:19], v134 offset:6336
	ds_load_b128 v[40:43], v134 offset:2816
	s_mov_b32 s10, 0xb2365da1
	s_mov_b32 s12, 0x4bc48dbf
	;; [unrolled: 6-line block ×3, first 2 shown]
	s_mov_b32 s19, 0xbfef11f4
	s_mov_b32 s23, 0x3fe5384d
	s_wait_dscnt 0x9
	v_add_f64_e64 v[100:101], v[46:47], -v[6:7]
	v_add_f64_e64 v[88:89], v[44:45], -v[4:5]
	v_add_f64_e32 v[80:81], v[44:45], v[4:5]
	s_wait_dscnt 0x6
	v_add_f64_e64 v[120:121], v[54:55], -v[10:11]
	v_add_f64_e32 v[128:129], v[46:47], v[6:7]
	v_add_f64_e64 v[82:83], v[52:53], -v[8:9]
	v_add_f64_e32 v[76:77], v[52:53], v[8:9]
	s_wait_dscnt 0x4
	v_add_f64_e64 v[102:103], v[50:51], -v[14:15]
	v_add_f64_e32 v[122:123], v[54:55], v[10:11]
	v_add_f64_e64 v[86:87], v[48:49], -v[12:13]
	v_add_f64_e32 v[90:91], v[48:49], v[12:13]
	v_add_f64_e32 v[124:125], v[50:51], v[14:15]
	s_wait_dscnt 0x2
	v_add_f64_e64 v[74:75], v[42:43], -v[18:19]
	v_add_f64_e64 v[72:73], v[40:41], -v[16:17]
	v_add_f64_e32 v[70:71], v[40:41], v[16:17]
	v_add_f64_e32 v[126:127], v[42:43], v[18:19]
	s_wait_dscnt 0x0
	v_add_f64_e64 v[78:79], v[30:31], -v[22:23]
	v_add_f64_e64 v[66:67], v[28:29], -v[20:21]
	s_mov_b32 s24, 0xd0032e0c
	s_mov_b32 s30, 0x66966769
	s_mov_b32 s25, 0xbfe7f3cc
	s_mov_b32 s31, 0x3fefc445
	v_add_f64_e32 v[68:69], v[28:29], v[20:21]
	v_add_f64_e32 v[130:131], v[30:31], v[22:23]
	s_mov_b32 s26, 0xebaa3ed8
	s_mov_b32 s34, 0x4267c47c
	;; [unrolled: 1-line block ×6, first 2 shown]
	s_add_nc_u64 s[2:3], s[14:15], s[2:3]
	s_mov_b32 s33, exec_lo
	v_mul_f64_e32 v[94:95], s[16:17], v[100:101]
	v_mul_f64_e32 v[96:97], s[16:17], v[88:89]
	s_wait_alu 0xfffe
	v_mul_f64_e32 v[92:93], s[20:21], v[120:121]
	v_mul_f64_e32 v[98:99], s[20:21], v[82:83]
	;; [unrolled: 1-line block ×8, first 2 shown]
	v_fma_f64 v[0:1], v[80:81], s[4:5], v[94:95]
	v_fma_f64 v[2:3], v[128:129], s[4:5], -v[96:97]
	v_fma_f64 v[32:33], v[76:77], s[10:11], v[92:93]
	v_fma_f64 v[34:35], v[122:123], s[10:11], -v[98:99]
	;; [unrolled: 2-line block ×5, first 2 shown]
	v_add_f64_e32 v[0:1], v[24:25], v[0:1]
	v_add_f64_e32 v[2:3], v[26:27], v[2:3]
	s_delay_alu instid0(VALU_DEP_2) | instskip(NEXT) | instid1(VALU_DEP_2)
	v_add_f64_e32 v[0:1], v[32:33], v[0:1]
	v_add_f64_e32 v[2:3], v[34:35], v[2:3]
	ds_load_b128 v[36:39], v134 offset:4224
	ds_load_b128 v[32:35], v134 offset:4928
	global_wb scope:SCOPE_SE
	s_wait_dscnt 0x0
	s_barrier_signal -1
	s_barrier_wait -1
	global_inv scope:SCOPE_SE
	v_add_f64_e64 v[84:85], v[38:39], -v[34:35]
	v_add_f64_e64 v[64:65], v[36:37], -v[32:33]
	v_add_f64_e32 v[132:133], v[38:39], v[34:35]
	v_add_f64_e32 v[0:1], v[62:63], v[0:1]
	v_add_f64_e32 v[2:3], v[116:117], v[2:3]
	v_add_f64_e32 v[62:63], v[36:37], v[32:33]
	v_mul_f64_e32 v[116:117], s[34:35], v[84:85]
	v_mul_f64_e32 v[118:119], s[34:35], v[64:65]
	v_add_f64_e32 v[0:1], v[135:136], v[0:1]
	v_add_f64_e32 v[2:3], v[137:138], v[2:3]
	s_delay_alu instid0(VALU_DEP_4) | instskip(NEXT) | instid1(VALU_DEP_4)
	v_fma_f64 v[135:136], v[62:63], s[28:29], v[116:117]
	v_fma_f64 v[137:138], v[132:133], s[28:29], -v[118:119]
	s_delay_alu instid0(VALU_DEP_4) | instskip(NEXT) | instid1(VALU_DEP_4)
	v_add_f64_e32 v[0:1], v[139:140], v[0:1]
	v_add_f64_e32 v[2:3], v[141:142], v[2:3]
	s_delay_alu instid0(VALU_DEP_2) | instskip(NEXT) | instid1(VALU_DEP_2)
	v_add_f64_e32 v[0:1], v[135:136], v[0:1]
	v_add_f64_e32 v[2:3], v[137:138], v[2:3]
	v_cmpx_gt_u32_e32 44, v58
	s_cbranch_execz .LBB0_15
; %bb.14:
	v_add_f64_e32 v[46:47], v[26:27], v[46:47]
	v_add_f64_e32 v[44:45], v[24:25], v[44:45]
	s_mov_b32 s41, 0xbfefc445
	s_mov_b32 s40, s30
	;; [unrolled: 1-line block ×4, first 2 shown]
	v_mul_f64_e32 v[135:136], s[24:25], v[128:129]
	v_mul_f64_e32 v[137:138], s[4:5], v[80:81]
	;; [unrolled: 1-line block ×24, first 2 shown]
	s_wait_alu 0xfffe
	v_mul_f64_e32 v[221:222], s[0:1], v[100:101]
	v_mul_f64_e32 v[223:224], s[40:41], v[100:101]
	s_mov_b32 s37, 0xbfddbe06
	s_mov_b32 s36, s34
	v_mul_f64_e32 v[201:202], s[18:19], v[122:123]
	s_mov_b32 s15, 0x3fcea1e5
	s_mov_b32 s14, s12
	v_mul_f64_e32 v[122:123], s[4:5], v[122:123]
	v_add_f64_e32 v[46:47], v[46:47], v[54:55]
	v_add_f64_e32 v[44:45], v[44:45], v[52:53]
	v_mul_f64_e32 v[52:53], s[18:19], v[128:129]
	v_mul_f64_e32 v[54:55], s[12:13], v[100:101]
	;; [unrolled: 1-line block ×4, first 2 shown]
	s_mov_b32 s39, 0x3fedeba7
	s_mov_b32 s38, s20
	;; [unrolled: 1-line block ×4, first 2 shown]
	v_fma_f64 v[233:234], v[88:89], s[22:23], v[135:136]
	v_fma_f64 v[135:136], v[88:89], s[0:1], v[135:136]
	v_add_f64_e32 v[96:97], v[96:97], v[143:144]
	v_add_f64_e64 v[94:95], v[137:138], -v[94:95]
	v_mul_f64_e32 v[203:204], s[22:23], v[120:121]
	v_mul_f64_e32 v[205:206], s[12:13], v[120:121]
	v_fma_f64 v[235:236], v[88:89], s[38:39], v[139:140]
	v_fma_f64 v[237:238], v[80:81], s[10:11], v[141:142]
	;; [unrolled: 1-line block ×5, first 2 shown]
	v_add_f64_e32 v[118:119], v[118:119], v[153:154]
	v_add_f64_e32 v[114:115], v[114:115], v[151:152]
	;; [unrolled: 1-line block ×3, first 2 shown]
	v_add_f64_e64 v[108:109], v[165:166], -v[108:109]
	v_add_f64_e64 v[104:105], v[159:160], -v[104:105]
	;; [unrolled: 1-line block ×3, first 2 shown]
	v_fma_f64 v[151:152], v[86:87], s[34:35], v[191:192]
	v_fma_f64 v[153:154], v[86:87], s[20:21], v[193:194]
	;; [unrolled: 1-line block ×7, first 2 shown]
	v_fma_f64 v[141:142], v[80:81], s[10:11], -v[141:142]
	v_mul_f64_e32 v[209:210], s[34:35], v[102:103]
	v_mul_f64_e32 v[225:226], s[0:1], v[102:103]
	;; [unrolled: 1-line block ×3, first 2 shown]
	v_add_f64_e32 v[50:51], v[46:47], v[50:51]
	v_add_f64_e32 v[48:49], v[44:45], v[48:49]
	v_fma_f64 v[229:230], v[88:89], s[14:15], v[52:53]
	v_fma_f64 v[231:232], v[80:81], s[18:19], v[54:55]
	;; [unrolled: 1-line block ×3, first 2 shown]
	v_fma_f64 v[54:55], v[80:81], s[18:19], -v[54:55]
	v_fma_f64 v[137:138], v[88:89], s[34:35], v[128:129]
	v_fma_f64 v[88:89], v[88:89], s[36:37], v[128:129]
	;; [unrolled: 1-line block ×3, first 2 shown]
	v_mul_f64_e32 v[207:208], s[16:17], v[102:103]
	v_add_f64_e32 v[233:234], v[26:27], v[233:234]
	v_add_f64_e32 v[135:136], v[26:27], v[135:136]
	;; [unrolled: 1-line block ×4, first 2 shown]
	v_mul_f64_e32 v[102:103], s[40:41], v[102:103]
	v_mul_f64_e32 v[179:180], s[4:5], v[126:127]
	v_add_f64_e32 v[235:236], v[26:27], v[235:236]
	v_add_f64_e32 v[237:238], v[24:25], v[237:238]
	;; [unrolled: 1-line block ×5, first 2 shown]
	v_mul_f64_e32 v[181:182], s[18:19], v[126:127]
	v_mul_f64_e32 v[183:184], s[26:27], v[126:127]
	;; [unrolled: 1-line block ×13, first 2 shown]
	v_add_f64_e32 v[141:142], v[24:25], v[141:142]
	v_mul_f64_e32 v[173:174], s[28:29], v[130:131]
	v_mul_f64_e32 v[175:176], s[18:19], v[130:131]
	;; [unrolled: 1-line block ×3, first 2 shown]
	v_add_f64_e32 v[42:43], v[50:51], v[42:43]
	v_add_f64_e32 v[40:41], v[48:49], v[40:41]
	v_mul_f64_e32 v[48:49], s[34:35], v[120:121]
	v_mul_f64_e32 v[50:51], s[30:31], v[120:121]
	;; [unrolled: 1-line block ×3, first 2 shown]
	v_add_f64_e32 v[52:53], v[26:27], v[52:53]
	v_add_f64_e32 v[54:55], v[24:25], v[54:55]
	;; [unrolled: 1-line block ×3, first 2 shown]
	v_mul_f64_e32 v[130:131], s[24:25], v[130:131]
	v_mul_f64_e32 v[217:218], s[34:35], v[78:79]
	;; [unrolled: 1-line block ×3, first 2 shown]
	v_add_f64_e32 v[135:136], v[165:166], v[135:136]
	v_add_f64_e32 v[96:97], v[98:99], v[96:97]
	v_add_f64_e32 v[92:93], v[92:93], v[94:95]
	v_mul_f64_e32 v[165:166], s[42:43], v[84:85]
	v_fma_f64 v[98:99], v[72:73], s[16:17], v[179:180]
	v_add_f64_e32 v[171:172], v[171:172], v[235:236]
	v_fma_f64 v[179:180], v[72:73], s[42:43], v[179:180]
	v_fma_f64 v[94:95], v[72:73], s[12:13], v[181:182]
	;; [unrolled: 1-line block ×5, first 2 shown]
	v_add_f64_e32 v[30:31], v[42:43], v[30:31]
	v_add_f64_e32 v[28:29], v[40:41], v[28:29]
	;; [unrolled: 1-line block ×4, first 2 shown]
	v_add_f64_e64 v[106:107], v[157:158], -v[116:117]
	v_add_f64_e64 v[110:111], v[161:162], -v[112:113]
	v_fma_f64 v[112:113], v[86:87], s[22:23], v[187:188]
	v_fma_f64 v[116:117], v[86:87], s[0:1], v[187:188]
	;; [unrolled: 1-line block ×9, first 2 shown]
	v_fma_f64 v[195:196], v[80:81], s[24:25], -v[221:222]
	v_fma_f64 v[197:198], v[80:81], s[26:27], v[223:224]
	v_fma_f64 v[199:200], v[80:81], s[26:27], -v[223:224]
	v_fma_f64 v[189:190], v[82:83], s[14:15], v[201:202]
	v_fma_f64 v[191:192], v[82:83], s[12:13], v[201:202]
	;; [unrolled: 1-line block ×3, first 2 shown]
	v_fma_f64 v[80:81], v[80:81], s[28:29], -v[100:101]
	v_fma_f64 v[100:101], v[82:83], s[42:43], v[122:123]
	v_fma_f64 v[82:83], v[82:83], s[16:17], v[122:123]
	;; [unrolled: 1-line block ×3, first 2 shown]
	v_fma_f64 v[48:49], v[76:77], s[28:29], -v[48:49]
	v_add_f64_e32 v[223:224], v[26:27], v[229:230]
	v_add_f64_e32 v[229:230], v[24:25], v[231:232]
	v_fma_f64 v[221:222], v[76:77], s[18:19], v[205:206]
	v_fma_f64 v[205:206], v[76:77], s[18:19], -v[205:206]
	v_add_f64_e32 v[26:27], v[26:27], v[88:89]
	v_add_f64_e32 v[88:89], v[24:25], v[193:194]
	v_fma_f64 v[231:232], v[76:77], s[4:5], v[120:121]
	v_add_f64_e32 v[52:53], v[159:160], v[52:53]
	v_mul_f64_e32 v[159:160], s[42:43], v[74:75]
	v_add_f64_e32 v[92:93], v[104:105], v[92:93]
	v_fma_f64 v[104:105], v[68:69], s[28:29], -v[217:218]
	v_add_f64_e32 v[30:31], v[30:31], v[38:39]
	v_add_f64_e32 v[28:29], v[28:29], v[36:37]
	v_fma_f64 v[36:37], v[76:77], s[26:27], v[50:51]
	v_fma_f64 v[38:39], v[76:77], s[26:27], -v[50:51]
	v_fma_f64 v[50:51], v[76:77], s[24:25], v[203:204]
	v_fma_f64 v[203:204], v[76:77], s[24:25], -v[203:204]
	v_fma_f64 v[76:77], v[76:77], s[4:5], -v[120:121]
	v_fma_f64 v[120:121], v[90:91], s[4:5], v[207:208]
	v_fma_f64 v[207:208], v[90:91], s[4:5], -v[207:208]
	v_add_f64_e32 v[42:43], v[42:43], v[96:97]
	v_add_f64_e32 v[161:162], v[161:162], v[233:234]
	;; [unrolled: 1-line block ×10, first 2 shown]
	v_fma_f64 v[80:81], v[90:91], s[28:29], v[209:210]
	v_fma_f64 v[201:202], v[90:91], s[28:29], -v[209:210]
	v_fma_f64 v[209:210], v[90:91], s[24:25], v[225:226]
	v_fma_f64 v[225:226], v[90:91], s[24:25], -v[225:226]
	v_add_f64_e32 v[48:49], v[48:49], v[54:55]
	v_add_f64_e32 v[124:125], v[124:125], v[223:224]
	;; [unrolled: 1-line block ×3, first 2 shown]
	v_mul_f64_e32 v[54:55], s[14:15], v[74:75]
	v_mul_f64_e32 v[74:75], s[40:41], v[74:75]
	v_add_f64_e32 v[100:101], v[100:101], v[137:138]
	v_add_f64_e32 v[26:27], v[82:83], v[26:27]
	;; [unrolled: 1-line block ×3, first 2 shown]
	v_mul_f64_e32 v[233:234], s[14:15], v[78:79]
	v_mul_f64_e32 v[78:79], s[0:1], v[78:79]
	v_fma_f64 v[137:138], v[70:71], s[28:29], -v[211:212]
	v_fma_f64 v[189:190], v[66:67], s[36:37], v[173:174]
	v_add_f64_e32 v[30:31], v[30:31], v[34:35]
	v_add_f64_e32 v[28:29], v[28:29], v[32:33]
	v_fma_f64 v[34:35], v[90:91], s[10:11], -v[227:228]
	v_add_f64_e32 v[36:37], v[36:37], v[88:89]
	v_add_f64_e32 v[50:51], v[50:51], v[237:238]
	;; [unrolled: 1-line block ×3, first 2 shown]
	v_fma_f64 v[32:33], v[90:91], s[10:11], v[227:228]
	v_fma_f64 v[227:228], v[90:91], s[26:27], v[102:103]
	v_fma_f64 v[90:91], v[90:91], s[26:27], -v[102:103]
	v_fma_f64 v[88:89], v[72:73], s[38:39], v[126:127]
	v_mul_f64_e32 v[102:103], s[30:31], v[84:85]
	v_fma_f64 v[203:204], v[66:67], s[38:39], v[132:133]
	v_fma_f64 v[132:133], v[66:67], s[20:21], v[132:133]
	v_add_f64_e32 v[116:117], v[128:129], v[161:162]
	v_fma_f64 v[173:174], v[66:67], s[34:35], v[173:174]
	v_add_f64_e32 v[38:39], v[38:39], v[193:194]
	v_add_f64_e32 v[82:83], v[221:222], v[195:196]
	;; [unrolled: 1-line block ×3, first 2 shown]
	v_fma_f64 v[195:196], v[70:71], s[4:5], v[159:160]
	v_fma_f64 v[159:160], v[70:71], s[4:5], -v[159:160]
	v_fma_f64 v[205:206], v[72:73], s[30:31], v[183:184]
	v_add_f64_e32 v[24:25], v[76:77], v[24:25]
	v_fma_f64 v[183:184], v[72:73], s[40:41], v[183:184]
	v_fma_f64 v[76:77], v[72:73], s[34:35], v[185:186]
	v_fma_f64 v[193:194], v[70:71], s[10:11], -v[213:214]
	v_fma_f64 v[191:192], v[66:67], s[12:13], v[175:176]
	v_add_f64_e32 v[48:49], v[225:226], v[48:49]
	v_fma_f64 v[175:176], v[66:67], s[14:15], v[175:176]
	v_add_f64_e32 v[40:41], v[40:41], v[42:43]
	v_add_f64_e32 v[42:43], v[108:109], v[92:93]
	v_mul_f64_e32 v[223:224], s[20:21], v[84:85]
	v_add_f64_e32 v[96:97], v[157:158], v[100:101]
	v_add_f64_e32 v[26:27], v[86:87], v[26:27]
	;; [unrolled: 1-line block ×3, first 2 shown]
	v_fma_f64 v[86:87], v[68:69], s[10:11], v[215:216]
	v_fma_f64 v[100:101], v[68:69], s[28:29], v[217:218]
	v_mul_f64_e32 v[229:230], s[12:13], v[84:85]
	v_mul_f64_e32 v[84:85], s[0:1], v[84:85]
	v_add_f64_e32 v[22:23], v[30:31], v[22:23]
	v_add_f64_e32 v[20:21], v[28:29], v[20:21]
	;; [unrolled: 1-line block ×3, first 2 shown]
	v_fma_f64 v[30:31], v[72:73], s[36:37], v[185:186]
	v_fma_f64 v[72:73], v[72:73], s[20:21], v[126:127]
	;; [unrolled: 1-line block ×5, first 2 shown]
	v_fma_f64 v[54:55], v[70:71], s[18:19], -v[54:55]
	v_fma_f64 v[211:212], v[70:71], s[26:27], v[74:75]
	v_fma_f64 v[70:71], v[70:71], s[26:27], -v[74:75]
	v_add_f64_e32 v[74:75], v[112:113], v[124:125]
	v_add_f64_e32 v[112:113], v[209:210], v[122:123]
	;; [unrolled: 1-line block ×14, first 2 shown]
	v_fma_f64 v[90:91], v[68:69], s[10:11], -v[215:216]
	v_add_f64_e32 v[48:49], v[159:160], v[48:49]
	v_fma_f64 v[82:83], v[66:67], s[22:23], v[130:131]
	v_fma_f64 v[120:121], v[68:69], s[4:5], v[219:220]
	;; [unrolled: 1-line block ×3, first 2 shown]
	v_fma_f64 v[143:144], v[68:69], s[18:19], -v[233:234]
	v_fma_f64 v[145:146], v[68:69], s[24:25], v[78:79]
	v_add_f64_e32 v[94:95], v[94:95], v[116:117]
	v_add_f64_e32 v[88:89], v[88:89], v[96:97]
	v_fma_f64 v[237:238], v[64:65], s[38:39], v[167:168]
	v_fma_f64 v[167:168], v[64:65], s[20:21], v[167:168]
	v_fma_f64 v[187:188], v[64:65], s[16:17], v[169:170]
	v_fma_f64 v[169:170], v[64:65], s[42:43], v[169:170]
	v_add_f64_e32 v[18:19], v[22:23], v[18:19]
	v_add_f64_e32 v[16:17], v[20:21], v[16:17]
	;; [unrolled: 1-line block ×3, first 2 shown]
	v_fma_f64 v[22:23], v[66:67], s[42:43], v[177:178]
	v_fma_f64 v[28:29], v[66:67], s[16:17], v[177:178]
	;; [unrolled: 1-line block ×3, first 2 shown]
	v_fma_f64 v[130:131], v[68:69], s[4:5], -v[219:220]
	v_fma_f64 v[68:69], v[68:69], s[24:25], -v[78:79]
	v_add_f64_e32 v[26:27], v[72:73], v[26:27]
	v_add_f64_e32 v[52:53], v[132:133], v[52:53]
	;; [unrolled: 1-line block ×17, first 2 shown]
	v_fma_f64 v[54:55], v[64:65], s[14:15], v[44:45]
	v_fma_f64 v[44:45], v[64:65], s[12:13], v[44:45]
	v_add_f64_e32 v[48:49], v[90:91], v[48:49]
	v_fma_f64 v[72:73], v[62:63], s[10:11], v[223:224]
	v_fma_f64 v[92:93], v[62:63], s[10:11], -v[223:224]
	v_fma_f64 v[96:97], v[62:63], s[18:19], v[229:230]
	v_fma_f64 v[108:109], v[62:63], s[4:5], v[165:166]
	v_fma_f64 v[116:117], v[62:63], s[4:5], -v[165:166]
	v_fma_f64 v[122:123], v[62:63], s[24:25], v[84:85]
	v_add_f64_e32 v[82:83], v[82:83], v[88:89]
	v_add_f64_e32 v[14:15], v[18:19], v[14:15]
	;; [unrolled: 1-line block ×4, first 2 shown]
	v_fma_f64 v[20:21], v[64:65], s[22:23], v[46:47]
	v_fma_f64 v[46:47], v[64:65], s[0:1], v[46:47]
	v_fma_f64 v[64:65], v[62:63], s[26:27], -v[102:103]
	v_fma_f64 v[18:19], v[62:63], s[26:27], v[102:103]
	v_fma_f64 v[102:103], v[62:63], s[18:19], -v[229:230]
	v_fma_f64 v[62:63], v[62:63], s[24:25], -v[84:85]
	v_add_f64_e32 v[84:85], v[189:190], v[94:95]
	v_add_f64_e32 v[66:67], v[66:67], v[26:27]
	;; [unrolled: 1-line block ×22, first 2 shown]
	v_mad_u32_u24 v52, 0xc0, v58, v134
	v_add_f64_e32 v[12:13], v[64:65], v[48:49]
	v_add_f64_e32 v[10:11], v[235:236], v[74:75]
	v_add_f64_e32 v[8:9], v[18:19], v[78:79]
	v_add_f64_e32 v[22:23], v[167:168], v[86:87]
	v_add_f64_e32 v[40:41], v[106:107], v[98:99]
	v_add_f64_e32 v[30:31], v[169:170], v[80:81]
	v_add_f64_e32 v[38:39], v[46:47], v[76:77]
	v_add_f64_e32 v[36:37], v[62:63], v[110:111]
	v_add_f64_e32 v[28:29], v[116:117], v[70:71]
	v_add_f64_e32 v[34:35], v[20:21], v[94:95]
	v_add_f64_e32 v[20:21], v[92:93], v[88:89]
	v_add_f64_e32 v[26:27], v[187:188], v[90:91]
	v_add_f64_e32 v[24:25], v[108:109], v[50:51]
	v_add_f64_e32 v[18:19], v[237:238], v[84:85]
	v_add_f64_e32 v[16:17], v[72:73], v[100:101]
	v_add_f64_e32 v[32:33], v[122:123], v[32:33]
	v_add_f64_e32 v[50:51], v[44:45], v[66:67]
	v_add_f64_e32 v[48:49], v[102:103], v[68:69]
	v_add_f64_e32 v[46:47], v[54:55], v[82:83]
	v_add_f64_e32 v[6:7], v[104:105], v[6:7]
	v_add_f64_e32 v[4:5], v[112:113], v[4:5]
	v_add_f64_e32 v[44:45], v[96:97], v[114:115]
	ds_store_b128 v52, v[12:15] offset:96
	ds_store_b128 v52, v[8:11] offset:112
	;; [unrolled: 1-line block ×11, first 2 shown]
	ds_store_b128 v52, v[4:7]
	ds_store_b128 v52, v[44:47] offset:192
.LBB0_15:
	s_or_b32 exec_lo, exec_lo, s33
	v_and_b32_e32 v4, 0xff, v58
	s_load_b64 s[2:3], s[2:3], 0x0
	global_wb scope:SCOPE_SE
	s_wait_dscnt 0x0
	s_wait_kmcnt 0x0
	s_barrier_signal -1
	s_barrier_wait -1
	v_mul_lo_u16 v4, 0x4f, v4
	global_inv scope:SCOPE_SE
	s_mov_b32 s20, 0xf8bb580b
	s_mov_b32 s21, 0xbfe14ced
	;; [unrolled: 1-line block ×3, first 2 shown]
	v_lshrrev_b16 v20, 10, v4
	s_mov_b32 s16, 0x8eee2c13
	s_mov_b32 s18, 0x43842ef
	;; [unrolled: 1-line block ×4, first 2 shown]
	v_mul_lo_u16 v4, v20, 13
	s_mov_b32 s23, 0xbfe82f19
	s_mov_b32 s24, 0xfd768dbf
	;; [unrolled: 1-line block ×4, first 2 shown]
	v_sub_nc_u16 v4, v58, v4
	s_mov_b32 s4, 0xd9c712b6
	s_mov_b32 s1, 0x3feaeb8c
	;; [unrolled: 1-line block ×4, first 2 shown]
	v_and_b32_e32 v21, 0xff, v4
	s_mov_b32 s27, 0x3fe14ced
	s_wait_alu 0xfffe
	s_mov_b32 s26, s20
	s_mov_b32 s11, 0xbfc2375f
	;; [unrolled: 1-line block ×3, first 2 shown]
	v_mul_u32_u24_e32 v4, 10, v21
	s_mov_b32 s29, 0x3fd207e7
	s_mov_b32 s28, s24
	;; [unrolled: 1-line block ×4, first 2 shown]
	v_lshlrev_b32_e32 v16, 4, v4
	s_mov_b32 s31, 0x3fefac9e
	s_mov_b32 s30, s18
	;; [unrolled: 1-line block ×3, first 2 shown]
	s_clause 0x9
	global_load_b128 v[4:7], v16, s[8:9]
	global_load_b128 v[8:11], v16, s[8:9] offset:144
	global_load_b128 v[12:15], v16, s[8:9] offset:16
	global_load_b128 v[22:25], v16, s[8:9] offset:128
	global_load_b128 v[26:29], v16, s[8:9] offset:32
	global_load_b128 v[30:33], v16, s[8:9] offset:112
	global_load_b128 v[34:37], v16, s[8:9] offset:48
	global_load_b128 v[38:41], v16, s[8:9] offset:96
	global_load_b128 v[42:45], v16, s[8:9] offset:64
	global_load_b128 v[46:49], v16, s[8:9] offset:80
	ds_load_b128 v[16:19], v134 offset:832
	ds_load_b128 v[50:53], v134 offset:8320
	;; [unrolled: 1-line block ×10, first 2 shown]
	s_wait_loadcnt_dscnt 0x909
	v_mul_f64_e32 v[54:55], v[18:19], v[6:7]
	v_mul_f64_e32 v[6:7], v[16:17], v[6:7]
	s_wait_loadcnt_dscnt 0x808
	v_mul_f64_e32 v[94:95], v[50:51], v[10:11]
	v_mul_f64_e32 v[10:11], v[52:53], v[10:11]
	;; [unrolled: 3-line block ×7, first 2 shown]
	s_wait_loadcnt 0x2
	v_mul_f64_e32 v[108:109], v[80:81], v[40:41]
	v_mul_f64_e32 v[40:41], v[78:79], v[40:41]
	s_wait_loadcnt_dscnt 0x101
	v_mul_f64_e32 v[110:111], v[88:89], v[44:45]
	v_mul_f64_e32 v[44:45], v[86:87], v[44:45]
	s_wait_loadcnt_dscnt 0x0
	v_mul_f64_e32 v[112:113], v[92:93], v[48:49]
	v_mul_f64_e32 v[48:49], v[90:91], v[48:49]
	v_fma_f64 v[54:55], v[16:17], v[4:5], -v[54:55]
	v_fma_f64 v[100:101], v[18:19], v[4:5], v[6:7]
	ds_load_b128 v[4:7], v134
	v_fma_f64 v[16:17], v[52:53], v[8:9], v[94:95]
	v_fma_f64 v[18:19], v[50:51], v[8:9], -v[10:11]
	v_fma_f64 v[50:51], v[62:63], v[12:13], -v[96:97]
	v_fma_f64 v[52:53], v[64:65], v[12:13], v[14:15]
	v_fma_f64 v[8:9], v[68:69], v[22:23], v[98:99]
	v_fma_f64 v[10:11], v[66:67], v[22:23], -v[24:25]
	v_fma_f64 v[62:63], v[70:71], v[26:27], -v[102:103]
	v_fma_f64 v[26:27], v[72:73], v[26:27], v[28:29]
	;; [unrolled: 4-line block ×3, first 2 shown]
	v_fma_f64 v[32:33], v[78:79], v[38:39], -v[108:109]
	v_fma_f64 v[34:35], v[80:81], v[38:39], v[40:41]
	v_fma_f64 v[36:37], v[86:87], v[42:43], -v[110:111]
	v_fma_f64 v[38:39], v[88:89], v[42:43], v[44:45]
	v_fma_f64 v[40:41], v[90:91], v[46:47], -v[112:113]
	v_fma_f64 v[42:43], v[92:93], v[46:47], v[48:49]
	global_wb scope:SCOPE_SE
	s_wait_dscnt 0x0
	s_barrier_signal -1
	s_barrier_wait -1
	global_inv scope:SCOPE_SE
	v_add_f64_e32 v[22:23], v[4:5], v[54:55]
	v_add_f64_e32 v[24:25], v[6:7], v[100:101]
	v_add_f64_e64 v[44:45], v[100:101], -v[16:17]
	v_add_f64_e64 v[46:47], v[54:55], -v[18:19]
	v_add_f64_e32 v[54:55], v[54:55], v[18:19]
	v_add_f64_e32 v[70:71], v[100:101], v[16:17]
	v_add_f64_e64 v[48:49], v[52:53], -v[8:9]
	v_add_f64_e64 v[64:65], v[50:51], -v[10:11]
	;; [unrolled: 1-line block ×4, first 2 shown]
	v_add_f64_e32 v[72:73], v[62:63], v[14:15]
	v_add_f64_e32 v[74:75], v[26:27], v[12:13]
	;; [unrolled: 1-line block ×3, first 2 shown]
	v_add_f64_e64 v[78:79], v[30:31], -v[34:35]
	v_add_f64_e64 v[80:81], v[28:29], -v[32:33]
	v_add_f64_e32 v[82:83], v[30:31], v[34:35]
	v_add_f64_e64 v[88:89], v[36:37], -v[40:41]
	v_add_f64_e32 v[84:85], v[36:37], v[40:41]
	v_add_f64_e32 v[86:87], v[38:39], v[42:43]
	v_add_f64_e64 v[90:91], v[38:39], -v[42:43]
	v_add_f64_e32 v[22:23], v[22:23], v[50:51]
	v_add_f64_e32 v[24:25], v[24:25], v[52:53]
	;; [unrolled: 1-line block ×3, first 2 shown]
	v_mul_f64_e32 v[92:93], s[20:21], v[44:45]
	v_mul_f64_e32 v[94:95], s[20:21], v[46:47]
	;; [unrolled: 1-line block ×12, first 2 shown]
	s_mov_b32 s17, 0x3fed1bb4
	v_add_f64_e32 v[52:53], v[52:53], v[8:9]
	v_mul_f64_e32 v[112:113], s[22:23], v[48:49]
	v_mul_f64_e32 v[114:115], s[22:23], v[64:65]
	;; [unrolled: 1-line block ×3, first 2 shown]
	s_wait_alu 0xfffe
	v_mul_f64_e32 v[159:160], s[26:27], v[88:89]
	v_mul_f64_e32 v[163:164], s[22:23], v[88:89]
	v_mul_f64_e32 v[167:168], s[18:19], v[88:89]
	v_mul_f64_e32 v[116:117], s[30:31], v[48:49]
	v_mul_f64_e32 v[118:119], s[30:31], v[64:65]
	v_mul_f64_e32 v[120:121], s[18:19], v[66:67]
	v_mul_f64_e32 v[122:123], s[18:19], v[68:69]
	v_mul_f64_e32 v[124:125], s[28:29], v[66:67]
	v_mul_f64_e32 v[126:127], s[28:29], v[68:69]
	v_mul_f64_e32 v[128:129], s[20:21], v[66:67]
	v_mul_f64_e32 v[130:131], s[20:21], v[68:69]
	v_mul_f64_e32 v[132:133], s[22:23], v[66:67]
	v_mul_f64_e32 v[135:136], s[22:23], v[68:69]
	v_mul_f64_e32 v[66:67], s[16:17], v[66:67]
	v_mul_f64_e32 v[68:69], s[16:17], v[68:69]
	v_mul_f64_e32 v[137:138], s[22:23], v[78:79]
	v_mul_f64_e32 v[139:140], s[22:23], v[80:81]
	v_mul_f64_e32 v[141:142], s[30:31], v[78:79]
	v_add_f64_e32 v[22:23], v[22:23], v[62:63]
	v_add_f64_e32 v[24:25], v[24:25], v[26:27]
	v_mul_f64_e32 v[26:27], s[28:29], v[48:49]
	v_mul_f64_e32 v[62:63], s[28:29], v[64:65]
	;; [unrolled: 1-line block ×3, first 2 shown]
	v_fma_f64 v[169:170], v[54:55], s[4:5], -v[96:97]
	v_fma_f64 v[171:172], v[70:71], s[4:5], v[98:99]
	v_fma_f64 v[96:97], v[54:55], s[4:5], v[96:97]
	v_fma_f64 v[173:174], v[54:55], s[10:11], -v[100:101]
	v_fma_f64 v[175:176], v[70:71], s[10:11], v[102:103]
	v_fma_f64 v[100:101], v[54:55], s[10:11], v[100:101]
	v_fma_f64 v[177:178], v[54:55], s[12:13], -v[104:105]
	v_fma_f64 v[179:180], v[70:71], s[12:13], v[106:107]
	v_mul_f64_e32 v[64:65], s[26:27], v[64:65]
	v_fma_f64 v[181:182], v[54:55], s[14:15], -v[44:45]
	v_fma_f64 v[183:184], v[70:71], s[14:15], v[46:47]
	v_fma_f64 v[104:105], v[54:55], s[12:13], v[104:105]
	;; [unrolled: 1-line block ×3, first 2 shown]
	v_fma_f64 v[46:47], v[70:71], s[14:15], -v[46:47]
	v_fma_f64 v[106:107], v[70:71], s[12:13], -v[106:107]
	;; [unrolled: 1-line block ×5, first 2 shown]
	v_fma_f64 v[187:188], v[52:53], s[12:13], v[114:115]
	v_fma_f64 v[112:113], v[50:51], s[12:13], v[112:113]
	v_fma_f64 v[193:194], v[50:51], s[10:11], -v[116:117]
	v_fma_f64 v[195:196], v[52:53], s[10:11], v[118:119]
	v_fma_f64 v[116:117], v[50:51], s[10:11], v[116:117]
	v_fma_f64 v[114:115], v[52:53], s[12:13], -v[114:115]
	v_mul_f64_e32 v[143:144], s[30:31], v[80:81]
	v_fma_f64 v[197:198], v[72:73], s[14:15], -v[124:125]
	v_fma_f64 v[199:200], v[74:75], s[14:15], v[126:127]
	v_fma_f64 v[124:125], v[72:73], s[14:15], v[124:125]
	v_fma_f64 v[126:127], v[74:75], s[14:15], -v[126:127]
	v_fma_f64 v[201:202], v[72:73], s[0:1], -v[128:129]
	v_fma_f64 v[203:204], v[74:75], s[0:1], v[130:131]
	v_fma_f64 v[128:129], v[72:73], s[0:1], v[128:129]
	v_fma_f64 v[130:131], v[74:75], s[0:1], -v[130:131]
	v_add_f64_e32 v[22:23], v[22:23], v[28:29]
	v_add_f64_e32 v[24:25], v[24:25], v[30:31]
	v_mul_f64_e32 v[28:29], s[16:17], v[88:89]
	v_fma_f64 v[30:31], v[54:55], s[0:1], -v[92:93]
	v_fma_f64 v[88:89], v[70:71], s[0:1], v[94:95]
	v_fma_f64 v[92:93], v[54:55], s[0:1], v[92:93]
	v_fma_f64 v[94:95], v[70:71], s[0:1], -v[94:95]
	v_fma_f64 v[54:55], v[50:51], s[4:5], -v[108:109]
	v_fma_f64 v[70:71], v[52:53], s[4:5], v[110:111]
	v_fma_f64 v[108:109], v[50:51], s[4:5], v[108:109]
	v_fma_f64 v[110:111], v[52:53], s[4:5], -v[110:111]
	v_add_f64_e32 v[169:170], v[4:5], v[169:170]
	v_add_f64_e32 v[171:172], v[6:7], v[171:172]
	v_fma_f64 v[189:190], v[50:51], s[14:15], -v[26:27]
	v_fma_f64 v[191:192], v[52:53], s[14:15], v[62:63]
	v_add_f64_e32 v[96:97], v[4:5], v[96:97]
	v_add_f64_e32 v[173:174], v[4:5], v[173:174]
	;; [unrolled: 1-line block ×3, first 2 shown]
	v_fma_f64 v[26:27], v[50:51], s[14:15], v[26:27]
	v_add_f64_e32 v[100:101], v[4:5], v[100:101]
	v_add_f64_e32 v[177:178], v[4:5], v[177:178]
	v_add_f64_e32 v[179:180], v[6:7], v[179:180]
	v_add_f64_e32 v[181:182], v[4:5], v[181:182]
	v_add_f64_e32 v[183:184], v[6:7], v[183:184]
	v_add_f64_e32 v[104:105], v[4:5], v[104:105]
	v_fma_f64 v[62:63], v[52:53], s[14:15], -v[62:63]
	v_add_f64_e32 v[102:103], v[6:7], v[102:103]
	v_add_f64_e32 v[98:99], v[6:7], v[98:99]
	v_fma_f64 v[209:210], v[72:73], s[4:5], -v[66:67]
	v_fma_f64 v[211:212], v[74:75], s[4:5], v[68:69]
	v_fma_f64 v[66:67], v[72:73], s[4:5], v[66:67]
	v_fma_f64 v[68:69], v[74:75], s[4:5], -v[68:69]
	v_mul_f64_e32 v[145:146], s[20:21], v[78:79]
	v_mul_f64_e32 v[147:148], s[20:21], v[80:81]
	;; [unrolled: 1-line block ×6, first 2 shown]
	v_add_f64_e32 v[22:23], v[22:23], v[36:37]
	v_add_f64_e32 v[24:25], v[24:25], v[38:39]
	v_fma_f64 v[36:37], v[52:53], s[10:11], -v[118:119]
	v_add_f64_e32 v[30:31], v[4:5], v[30:31]
	v_fma_f64 v[38:39], v[50:51], s[0:1], -v[48:49]
	v_add_f64_e32 v[92:93], v[4:5], v[92:93]
	v_add_f64_e32 v[94:95], v[6:7], v[94:95]
	v_fma_f64 v[118:119], v[52:53], s[0:1], v[64:65]
	v_fma_f64 v[48:49], v[50:51], s[0:1], v[48:49]
	v_fma_f64 v[50:51], v[52:53], s[0:1], -v[64:65]
	v_add_f64_e32 v[4:5], v[4:5], v[44:45]
	v_add_f64_e32 v[44:45], v[6:7], v[46:47]
	;; [unrolled: 1-line block ×4, first 2 shown]
	v_fma_f64 v[52:53], v[72:73], s[10:11], -v[120:121]
	v_fma_f64 v[64:65], v[74:75], s[10:11], v[122:123]
	v_fma_f64 v[120:121], v[72:73], s[10:11], v[120:121]
	v_fma_f64 v[122:123], v[74:75], s[10:11], -v[122:123]
	v_fma_f64 v[88:89], v[72:73], s[12:13], v[132:133]
	v_fma_f64 v[106:107], v[74:75], s[12:13], -v[135:136]
	v_add_f64_e32 v[26:27], v[26:27], v[100:101]
	v_add_f64_e32 v[100:101], v[193:194], v[177:178]
	v_mul_f64_e32 v[153:154], s[24:25], v[90:91]
	v_mul_f64_e32 v[157:158], s[26:27], v[90:91]
	v_add_f64_e32 v[104:105], v[116:117], v[104:105]
	v_fma_f64 v[205:206], v[76:77], s[10:11], -v[141:142]
	v_fma_f64 v[207:208], v[82:83], s[10:11], v[143:144]
	v_mul_f64_e32 v[161:162], s[22:23], v[90:91]
	v_fma_f64 v[141:142], v[76:77], s[10:11], v[141:142]
	v_fma_f64 v[143:144], v[82:83], s[10:11], -v[143:144]
	v_mul_f64_e32 v[165:166], s[18:19], v[90:91]
	v_mul_f64_e32 v[90:91], s[16:17], v[90:91]
	v_add_f64_e32 v[22:23], v[22:23], v[40:41]
	v_add_f64_e32 v[24:25], v[24:25], v[42:43]
	v_fma_f64 v[40:41], v[72:73], s[12:13], -v[132:133]
	v_fma_f64 v[42:43], v[74:75], s[12:13], v[135:136]
	v_add_f64_e32 v[30:31], v[54:55], v[30:31]
	v_add_f64_e32 v[54:55], v[108:109], v[92:93]
	;; [unrolled: 1-line block ×17, first 2 shown]
	v_fma_f64 v[132:133], v[76:77], s[12:13], -v[137:138]
	v_fma_f64 v[135:136], v[82:83], s[12:13], v[139:140]
	v_fma_f64 v[137:138], v[76:77], s[12:13], v[137:138]
	v_fma_f64 v[139:140], v[82:83], s[12:13], -v[139:140]
	v_fma_f64 v[50:51], v[76:77], s[0:1], v[145:146]
	v_fma_f64 v[62:63], v[82:83], s[0:1], -v[147:148]
	v_fma_f64 v[70:71], v[76:77], s[14:15], -v[149:150]
	v_fma_f64 v[98:99], v[82:83], s[14:15], v[151:152]
	v_fma_f64 v[102:103], v[76:77], s[14:15], v[149:150]
	v_fma_f64 v[114:115], v[82:83], s[14:15], -v[151:152]
	v_fma_f64 v[149:150], v[76:77], s[4:5], -v[78:79]
	v_fma_f64 v[151:152], v[82:83], s[4:5], v[80:81]
	v_add_f64_e32 v[26:27], v[66:67], v[26:27]
	v_add_f64_e32 v[66:67], v[201:202], v[100:101]
	v_fma_f64 v[118:119], v[86:87], s[14:15], v[155:156]
	v_fma_f64 v[100:101], v[86:87], s[12:13], v[163:164]
	v_fma_f64 v[116:117], v[84:85], s[14:15], -v[153:154]
	v_add_f64_e32 v[22:23], v[22:23], v[32:33]
	v_add_f64_e32 v[24:25], v[24:25], v[34:35]
	v_fma_f64 v[32:33], v[76:77], s[0:1], -v[145:146]
	v_fma_f64 v[34:35], v[82:83], s[0:1], v[147:148]
	v_add_f64_e32 v[30:31], v[52:53], v[30:31]
	v_add_f64_e32 v[52:53], v[120:121], v[54:55]
	;; [unrolled: 1-line block ×5, first 2 shown]
	v_fma_f64 v[76:77], v[76:77], s[4:5], v[78:79]
	v_fma_f64 v[78:79], v[82:83], s[4:5], -v[80:81]
	v_add_f64_e32 v[82:83], v[209:210], v[96:97]
	v_add_f64_e32 v[92:93], v[211:212], v[108:109]
	;; [unrolled: 1-line block ×13, first 2 shown]
	v_fma_f64 v[145:146], v[84:85], s[14:15], v[153:154]
	v_fma_f64 v[147:148], v[86:87], s[14:15], -v[155:156]
	v_fma_f64 v[48:49], v[86:87], s[0:1], v[159:160]
	v_fma_f64 v[68:69], v[86:87], s[0:1], -v[159:160]
	v_fma_f64 v[106:107], v[86:87], s[12:13], -v[163:164]
	v_fma_f64 v[110:111], v[86:87], s[10:11], v[167:168]
	v_fma_f64 v[120:121], v[86:87], s[10:11], -v[167:168]
	v_fma_f64 v[124:125], v[86:87], s[4:5], v[28:29]
	v_fma_f64 v[86:87], v[86:87], s[4:5], -v[28:29]
	v_fma_f64 v[88:89], v[84:85], s[12:13], -v[161:162]
	v_fma_f64 v[122:123], v[84:85], s[4:5], -v[90:91]
	v_add_f64_e32 v[66:67], v[70:71], v[66:67]
	v_fma_f64 v[108:109], v[84:85], s[10:11], -v[165:166]
	v_fma_f64 v[112:113], v[84:85], s[10:11], v[165:166]
	v_add_f64_e32 v[14:15], v[22:23], v[14:15]
	v_add_f64_e32 v[12:13], v[24:25], v[12:13]
	v_fma_f64 v[24:25], v[84:85], s[0:1], -v[157:158]
	v_fma_f64 v[64:65], v[84:85], s[0:1], v[157:158]
	v_add_f64_e32 v[22:23], v[132:133], v[30:31]
	v_add_f64_e32 v[28:29], v[137:138], v[52:53]
	;; [unrolled: 1-line block ×5, first 2 shown]
	v_fma_f64 v[104:105], v[84:85], s[12:13], v[161:162]
	v_fma_f64 v[84:85], v[84:85], s[4:5], v[90:91]
	v_add_f64_e32 v[32:33], v[32:33], v[82:83]
	v_add_f64_e32 v[34:35], v[34:35], v[92:93]
	;; [unrolled: 1-line block ×14, first 2 shown]
	v_cmp_gt_u32_e64 s0, 39, v58
	v_add_f64_e32 v[92:93], v[14:15], v[10:11]
	v_add_f64_e32 v[94:95], v[12:13], v[8:9]
	;; [unrolled: 1-line block ×24, first 2 shown]
	v_and_b32_e32 v16, 0xffff, v20
	v_lshlrev_b32_e32 v17, 4, v21
	s_delay_alu instid0(VALU_DEP_2) | instskip(NEXT) | instid1(VALU_DEP_1)
	v_mul_u32_u24_e32 v16, 0x8f0, v16
	v_add3_u32 v16, 0, v16, v17
	ds_store_b128 v16, v[26:29] offset:416
	ds_store_b128 v16, v[30:33] offset:624
	;; [unrolled: 1-line block ×9, first 2 shown]
	ds_store_b128 v16, v[50:53]
	ds_store_b128 v16, v[22:25] offset:208
	global_wb scope:SCOPE_SE
	s_wait_dscnt 0x0
	s_barrier_signal -1
	s_barrier_wait -1
	global_inv scope:SCOPE_SE
	ds_load_b128 v[16:19], v134
	ds_load_b128 v[20:23], v134 offset:832
	ds_load_b128 v[36:39], v134 offset:2288
	;; [unrolled: 1-line block ×7, first 2 shown]
	s_and_saveexec_b32 s1, s0
	s_cbranch_execz .LBB0_17
; %bb.16:
	ds_load_b128 v[4:7], v134 offset:1664
	ds_load_b128 v[8:11], v134 offset:3952
	;; [unrolled: 1-line block ×4, first 2 shown]
.LBB0_17:
	s_wait_alu 0xfffe
	s_or_b32 exec_lo, exec_lo, s1
	v_mul_u32_u24_e32 v48, 3, v58
	s_delay_alu instid0(VALU_DEP_1)
	v_lshlrev_b32_e32 v59, 4, v48
	s_clause 0x5
	global_load_b128 v[48:51], v59, s[8:9] offset:2080
	global_load_b128 v[52:55], v59, s[8:9] offset:2096
	;; [unrolled: 1-line block ×6, first 2 shown]
	global_wb scope:SCOPE_SE
	s_wait_loadcnt_dscnt 0x0
	s_barrier_signal -1
	s_barrier_wait -1
	global_inv scope:SCOPE_SE
	v_mul_f64_e32 v[78:79], v[38:39], v[50:51]
	v_mul_f64_e32 v[50:51], v[36:37], v[50:51]
	;; [unrolled: 1-line block ×12, first 2 shown]
	v_fma_f64 v[36:37], v[36:37], v[48:49], -v[78:79]
	v_fma_f64 v[38:39], v[38:39], v[48:49], v[50:51]
	v_fma_f64 v[40:41], v[40:41], v[52:53], -v[80:81]
	v_fma_f64 v[42:43], v[42:43], v[52:53], v[54:55]
	;; [unrolled: 2-line block ×6, first 2 shown]
	v_add_f64_e64 v[40:41], v[16:17], -v[40:41]
	v_add_f64_e64 v[42:43], v[18:19], -v[42:43]
	;; [unrolled: 1-line block ×8, first 2 shown]
	v_fma_f64 v[52:53], v[16:17], 2.0, -v[40:41]
	v_fma_f64 v[54:55], v[18:19], 2.0, -v[42:43]
	;; [unrolled: 1-line block ×4, first 2 shown]
	v_add_f64_e64 v[16:17], v[40:41], -v[46:47]
	v_add_f64_e32 v[18:19], v[42:43], v[44:45]
	v_fma_f64 v[62:63], v[20:21], 2.0, -v[48:49]
	v_fma_f64 v[64:65], v[22:23], 2.0, -v[50:51]
	;; [unrolled: 1-line block ×4, first 2 shown]
	v_add_f64_e64 v[20:21], v[48:49], -v[30:31]
	v_add_f64_e32 v[22:23], v[50:51], v[28:29]
	v_add_f64_e64 v[24:25], v[52:53], -v[32:33]
	v_add_f64_e64 v[26:27], v[54:55], -v[34:35]
	v_fma_f64 v[32:33], v[40:41], 2.0, -v[16:17]
	v_fma_f64 v[34:35], v[42:43], 2.0, -v[18:19]
	v_add_f64_e64 v[28:29], v[62:63], -v[36:37]
	v_add_f64_e64 v[30:31], v[64:65], -v[38:39]
	v_fma_f64 v[36:37], v[48:49], 2.0, -v[20:21]
	v_fma_f64 v[38:39], v[50:51], 2.0, -v[22:23]
	;; [unrolled: 1-line block ×6, first 2 shown]
	ds_store_b128 v134, v[32:35] offset:2288
	ds_store_b128 v134, v[36:39] offset:3120
	;; [unrolled: 1-line block ×4, first 2 shown]
	ds_store_b128 v134, v[40:43]
	ds_store_b128 v134, v[44:47] offset:832
	ds_store_b128 v134, v[16:19] offset:6864
	;; [unrolled: 1-line block ×3, first 2 shown]
	s_and_saveexec_b32 s1, s0
	s_cbranch_execz .LBB0_19
; %bb.18:
	v_add_nc_u32_e32 v16, 0x68, v58
	v_subrev_nc_u32_e32 v17, 39, v58
	s_delay_alu instid0(VALU_DEP_1) | instskip(SKIP_1) | instid1(VALU_DEP_2)
	v_cndmask_b32_e64 v16, v17, v16, s0
	v_mov_b32_e32 v17, 0
	v_mul_i32_i24_e32 v16, 3, v16
	s_delay_alu instid0(VALU_DEP_1) | instskip(NEXT) | instid1(VALU_DEP_1)
	v_lshlrev_b64_e32 v[16:17], 4, v[16:17]
	v_add_co_u32 v24, s0, s8, v16
	s_wait_alu 0xf1ff
	s_delay_alu instid0(VALU_DEP_2)
	v_add_co_ci_u32_e64 v25, s0, s9, v17, s0
	s_clause 0x2
	global_load_b128 v[16:19], v[24:25], off offset:2096
	global_load_b128 v[20:23], v[24:25], off offset:2080
	;; [unrolled: 1-line block ×3, first 2 shown]
	s_wait_loadcnt 0x2
	v_mul_f64_e32 v[28:29], v[12:13], v[18:19]
	s_wait_loadcnt 0x1
	v_mul_f64_e32 v[30:31], v[10:11], v[22:23]
	v_mul_f64_e32 v[22:23], v[8:9], v[22:23]
	s_wait_loadcnt 0x0
	v_mul_f64_e32 v[32:33], v[0:1], v[26:27]
	v_mul_f64_e32 v[18:19], v[14:15], v[18:19]
	;; [unrolled: 1-line block ×3, first 2 shown]
	v_fma_f64 v[14:15], v[14:15], v[16:17], v[28:29]
	v_fma_f64 v[8:9], v[8:9], v[20:21], -v[30:31]
	v_fma_f64 v[10:11], v[10:11], v[20:21], v[22:23]
	v_fma_f64 v[2:3], v[2:3], v[24:25], v[32:33]
	v_fma_f64 v[12:13], v[12:13], v[16:17], -v[18:19]
	v_fma_f64 v[0:1], v[0:1], v[24:25], -v[26:27]
	v_add_f64_e64 v[14:15], v[6:7], -v[14:15]
	s_delay_alu instid0(VALU_DEP_4) | instskip(NEXT) | instid1(VALU_DEP_4)
	v_add_f64_e64 v[16:17], v[10:11], -v[2:3]
	v_add_f64_e64 v[18:19], v[4:5], -v[12:13]
	s_delay_alu instid0(VALU_DEP_4) | instskip(NEXT) | instid1(VALU_DEP_4)
	v_add_f64_e64 v[0:1], v[8:9], -v[0:1]
	v_fma_f64 v[12:13], v[6:7], 2.0, -v[14:15]
	s_delay_alu instid0(VALU_DEP_4) | instskip(NEXT) | instid1(VALU_DEP_4)
	v_fma_f64 v[6:7], v[10:11], 2.0, -v[16:17]
	v_fma_f64 v[20:21], v[4:5], 2.0, -v[18:19]
	s_delay_alu instid0(VALU_DEP_4) | instskip(SKIP_3) | instid1(VALU_DEP_4)
	v_fma_f64 v[4:5], v[8:9], 2.0, -v[0:1]
	v_add_f64_e32 v[2:3], v[14:15], v[0:1]
	v_add_f64_e64 v[0:1], v[18:19], -v[16:17]
	v_add_f64_e64 v[6:7], v[12:13], -v[6:7]
	;; [unrolled: 1-line block ×3, first 2 shown]
	s_delay_alu instid0(VALU_DEP_4) | instskip(NEXT) | instid1(VALU_DEP_4)
	v_fma_f64 v[10:11], v[14:15], 2.0, -v[2:3]
	v_fma_f64 v[8:9], v[18:19], 2.0, -v[0:1]
	s_delay_alu instid0(VALU_DEP_4) | instskip(NEXT) | instid1(VALU_DEP_4)
	v_fma_f64 v[14:15], v[12:13], 2.0, -v[6:7]
	v_fma_f64 v[12:13], v[20:21], 2.0, -v[4:5]
	ds_store_b128 v134, v[12:15] offset:1664
	ds_store_b128 v134, v[8:11] offset:3952
	;; [unrolled: 1-line block ×4, first 2 shown]
.LBB0_19:
	s_wait_alu 0xfffe
	s_or_b32 exec_lo, exec_lo, s1
	global_wb scope:SCOPE_SE
	s_wait_dscnt 0x0
	s_barrier_signal -1
	s_barrier_wait -1
	global_inv scope:SCOPE_SE
	ds_load_b128 v[0:3], v134
	v_lshlrev_b32_e32 v4, 4, v58
	s_mov_b32 s1, exec_lo
                                        ; implicit-def: $vgpr6_vgpr7
                                        ; implicit-def: $vgpr8_vgpr9
	s_delay_alu instid0(VALU_DEP_1)
	v_sub_nc_u32_e32 v10, 0, v4
                                        ; implicit-def: $vgpr4_vgpr5
	v_cmpx_ne_u32_e32 0, v58
	s_wait_alu 0xfffe
	s_xor_b32 s1, exec_lo, s1
	s_cbranch_execz .LBB0_21
; %bb.20:
	v_mov_b32_e32 v59, 0
	ds_load_b128 v[11:14], v10 offset:9152
	v_lshlrev_b64_e32 v[4:5], 4, v[58:59]
	s_delay_alu instid0(VALU_DEP_1) | instskip(SKIP_1) | instid1(VALU_DEP_2)
	v_add_co_u32 v4, s0, s8, v4
	s_wait_alu 0xf1ff
	v_add_co_ci_u32_e64 v5, s0, s9, v5, s0
	global_load_b128 v[6:9], v[4:5], off offset:8944
	s_wait_dscnt 0x0
	v_add_f64_e64 v[4:5], v[0:1], -v[11:12]
	v_add_f64_e32 v[15:16], v[2:3], v[13:14]
	v_add_f64_e64 v[2:3], v[2:3], -v[13:14]
	v_add_f64_e32 v[0:1], v[0:1], v[11:12]
	s_delay_alu instid0(VALU_DEP_4) | instskip(NEXT) | instid1(VALU_DEP_4)
	v_mul_f64_e32 v[4:5], 0.5, v[4:5]
	v_mul_f64_e32 v[13:14], 0.5, v[15:16]
	s_delay_alu instid0(VALU_DEP_4) | instskip(SKIP_1) | instid1(VALU_DEP_3)
	v_mul_f64_e32 v[2:3], 0.5, v[2:3]
	s_wait_loadcnt 0x0
	v_mul_f64_e32 v[11:12], v[4:5], v[8:9]
	s_delay_alu instid0(VALU_DEP_2) | instskip(SKIP_1) | instid1(VALU_DEP_3)
	v_fma_f64 v[15:16], v[13:14], v[8:9], v[2:3]
	v_fma_f64 v[2:3], v[13:14], v[8:9], -v[2:3]
	v_fma_f64 v[8:9], v[0:1], 0.5, v[11:12]
	v_fma_f64 v[0:1], v[0:1], 0.5, -v[11:12]
	s_delay_alu instid0(VALU_DEP_4) | instskip(NEXT) | instid1(VALU_DEP_4)
	v_fma_f64 v[11:12], -v[6:7], v[4:5], v[15:16]
	v_fma_f64 v[2:3], -v[6:7], v[4:5], v[2:3]
	ds_store_b64 v134, v[11:12] offset:8
	ds_store_b64 v10, v[2:3] offset:9160
	v_fma_f64 v[4:5], v[13:14], v[6:7], v[8:9]
	v_fma_f64 v[6:7], -v[13:14], v[6:7], v[0:1]
	v_dual_mov_b32 v8, v58 :: v_dual_mov_b32 v9, v59
                                        ; implicit-def: $vgpr0_vgpr1
.LBB0_21:
	s_wait_alu 0xfffe
	s_and_not1_saveexec_b32 s0, s1
	s_cbranch_execz .LBB0_23
; %bb.22:
	s_wait_dscnt 0x0
	v_add_f64_e32 v[4:5], v[0:1], v[2:3]
	v_add_f64_e64 v[6:7], v[0:1], -v[2:3]
	s_mov_b32 s4, 0
	v_mov_b32_e32 v2, 0
	s_wait_alu 0xfffe
	s_mov_b32 s5, s4
	s_wait_alu 0xfffe
	v_dual_mov_b32 v0, s4 :: v_dual_mov_b32 v1, s5
	v_mov_b32_e32 v8, 0
	v_mov_b32_e32 v9, 0
	ds_store_b64 v134, v[0:1] offset:8
	ds_store_b64 v10, v[0:1] offset:9160
	ds_load_b64 v[0:1], v2 offset:4584
	s_wait_dscnt 0x0
	v_xor_b32_e32 v1, 0x80000000, v1
	ds_store_b64 v2, v[0:1] offset:4584
.LBB0_23:
	s_wait_alu 0xfffe
	s_or_b32 exec_lo, exec_lo, s0
	s_wait_dscnt 0x0
	v_lshlrev_b64_e32 v[0:1], 4, v[8:9]
	s_add_nc_u64 s[0:1], s[8:9], 0x22f0
	s_wait_alu 0xfffe
	s_delay_alu instid0(VALU_DEP_1) | instskip(SKIP_1) | instid1(VALU_DEP_2)
	v_add_co_u32 v0, s0, s0, v0
	s_wait_alu 0xf1ff
	v_add_co_ci_u32_e64 v1, s0, s1, v1, s0
	s_mov_b32 s1, exec_lo
	s_clause 0x1
	global_load_b128 v[11:14], v[0:1], off offset:832
	global_load_b128 v[15:18], v[0:1], off offset:1664
	ds_store_b64 v134, v[4:5]
	ds_store_b64 v10, v[6:7] offset:9152
	ds_load_b128 v[2:5], v134 offset:832
	ds_load_b128 v[6:9], v10 offset:8320
	s_wait_dscnt 0x0
	v_add_f64_e64 v[19:20], v[2:3], -v[6:7]
	v_add_f64_e32 v[21:22], v[4:5], v[8:9]
	v_add_f64_e64 v[4:5], v[4:5], -v[8:9]
	v_add_f64_e32 v[2:3], v[2:3], v[6:7]
	s_delay_alu instid0(VALU_DEP_4) | instskip(NEXT) | instid1(VALU_DEP_4)
	v_mul_f64_e32 v[8:9], 0.5, v[19:20]
	v_mul_f64_e32 v[19:20], 0.5, v[21:22]
	s_delay_alu instid0(VALU_DEP_4) | instskip(SKIP_1) | instid1(VALU_DEP_3)
	v_mul_f64_e32 v[4:5], 0.5, v[4:5]
	s_wait_loadcnt 0x1
	v_mul_f64_e32 v[6:7], v[8:9], v[13:14]
	s_delay_alu instid0(VALU_DEP_2) | instskip(SKIP_1) | instid1(VALU_DEP_3)
	v_fma_f64 v[21:22], v[19:20], v[13:14], v[4:5]
	v_fma_f64 v[13:14], v[19:20], v[13:14], -v[4:5]
	v_fma_f64 v[23:24], v[2:3], 0.5, v[6:7]
	v_fma_f64 v[6:7], v[2:3], 0.5, -v[6:7]
	s_delay_alu instid0(VALU_DEP_4) | instskip(NEXT) | instid1(VALU_DEP_4)
	v_fma_f64 v[4:5], -v[11:12], v[8:9], v[21:22]
	v_fma_f64 v[8:9], -v[11:12], v[8:9], v[13:14]
	s_delay_alu instid0(VALU_DEP_4) | instskip(NEXT) | instid1(VALU_DEP_4)
	v_fma_f64 v[2:3], v[19:20], v[11:12], v[23:24]
	v_fma_f64 v[6:7], -v[19:20], v[11:12], v[6:7]
	global_load_b128 v[11:14], v[0:1], off offset:2496
	ds_store_b128 v134, v[2:5] offset:832
	ds_store_b128 v10, v[6:9] offset:8320
	ds_load_b128 v[2:5], v134 offset:1664
	ds_load_b128 v[6:9], v10 offset:7488
	s_wait_dscnt 0x0
	v_add_f64_e64 v[19:20], v[2:3], -v[6:7]
	v_add_f64_e32 v[21:22], v[4:5], v[8:9]
	v_add_f64_e64 v[4:5], v[4:5], -v[8:9]
	v_add_f64_e32 v[2:3], v[2:3], v[6:7]
	s_delay_alu instid0(VALU_DEP_4) | instskip(NEXT) | instid1(VALU_DEP_4)
	v_mul_f64_e32 v[8:9], 0.5, v[19:20]
	v_mul_f64_e32 v[19:20], 0.5, v[21:22]
	s_delay_alu instid0(VALU_DEP_4) | instskip(SKIP_1) | instid1(VALU_DEP_3)
	v_mul_f64_e32 v[4:5], 0.5, v[4:5]
	s_wait_loadcnt 0x1
	v_mul_f64_e32 v[6:7], v[8:9], v[17:18]
	s_delay_alu instid0(VALU_DEP_2) | instskip(SKIP_1) | instid1(VALU_DEP_3)
	v_fma_f64 v[21:22], v[19:20], v[17:18], v[4:5]
	v_fma_f64 v[17:18], v[19:20], v[17:18], -v[4:5]
	v_fma_f64 v[23:24], v[2:3], 0.5, v[6:7]
	v_fma_f64 v[6:7], v[2:3], 0.5, -v[6:7]
	s_delay_alu instid0(VALU_DEP_4) | instskip(NEXT) | instid1(VALU_DEP_4)
	v_fma_f64 v[4:5], -v[15:16], v[8:9], v[21:22]
	v_fma_f64 v[8:9], -v[15:16], v[8:9], v[17:18]
	s_delay_alu instid0(VALU_DEP_4) | instskip(NEXT) | instid1(VALU_DEP_4)
	v_fma_f64 v[2:3], v[19:20], v[15:16], v[23:24]
	v_fma_f64 v[6:7], -v[19:20], v[15:16], v[6:7]
	global_load_b128 v[15:18], v[0:1], off offset:3328
	ds_store_b128 v134, v[2:5] offset:1664
	ds_store_b128 v10, v[6:9] offset:7488
	ds_load_b128 v[2:5], v134 offset:2496
	ds_load_b128 v[6:9], v10 offset:6656
	s_wait_dscnt 0x0
	v_add_f64_e64 v[19:20], v[2:3], -v[6:7]
	v_add_f64_e32 v[21:22], v[4:5], v[8:9]
	v_add_f64_e64 v[4:5], v[4:5], -v[8:9]
	v_add_f64_e32 v[2:3], v[2:3], v[6:7]
	s_delay_alu instid0(VALU_DEP_4) | instskip(NEXT) | instid1(VALU_DEP_4)
	v_mul_f64_e32 v[8:9], 0.5, v[19:20]
	v_mul_f64_e32 v[19:20], 0.5, v[21:22]
	s_delay_alu instid0(VALU_DEP_4) | instskip(SKIP_1) | instid1(VALU_DEP_3)
	v_mul_f64_e32 v[4:5], 0.5, v[4:5]
	s_wait_loadcnt 0x1
	v_mul_f64_e32 v[6:7], v[8:9], v[13:14]
	s_delay_alu instid0(VALU_DEP_2) | instskip(SKIP_1) | instid1(VALU_DEP_3)
	v_fma_f64 v[21:22], v[19:20], v[13:14], v[4:5]
	v_fma_f64 v[13:14], v[19:20], v[13:14], -v[4:5]
	v_fma_f64 v[23:24], v[2:3], 0.5, v[6:7]
	v_fma_f64 v[6:7], v[2:3], 0.5, -v[6:7]
	s_delay_alu instid0(VALU_DEP_4) | instskip(NEXT) | instid1(VALU_DEP_4)
	v_fma_f64 v[4:5], -v[11:12], v[8:9], v[21:22]
	v_fma_f64 v[8:9], -v[11:12], v[8:9], v[13:14]
	s_delay_alu instid0(VALU_DEP_4) | instskip(NEXT) | instid1(VALU_DEP_4)
	v_fma_f64 v[2:3], v[19:20], v[11:12], v[23:24]
	v_fma_f64 v[6:7], -v[19:20], v[11:12], v[6:7]
	ds_store_b128 v134, v[2:5] offset:2496
	ds_store_b128 v10, v[6:9] offset:6656
	ds_load_b128 v[2:5], v134 offset:3328
	ds_load_b128 v[6:9], v10 offset:5824
	s_wait_dscnt 0x0
	v_add_f64_e64 v[11:12], v[2:3], -v[6:7]
	v_add_f64_e32 v[13:14], v[4:5], v[8:9]
	v_add_f64_e64 v[4:5], v[4:5], -v[8:9]
	v_add_f64_e32 v[2:3], v[2:3], v[6:7]
	s_delay_alu instid0(VALU_DEP_4) | instskip(NEXT) | instid1(VALU_DEP_4)
	v_mul_f64_e32 v[8:9], 0.5, v[11:12]
	v_mul_f64_e32 v[11:12], 0.5, v[13:14]
	s_delay_alu instid0(VALU_DEP_4) | instskip(SKIP_1) | instid1(VALU_DEP_3)
	v_mul_f64_e32 v[4:5], 0.5, v[4:5]
	s_wait_loadcnt 0x0
	v_mul_f64_e32 v[6:7], v[8:9], v[17:18]
	s_delay_alu instid0(VALU_DEP_2) | instskip(SKIP_1) | instid1(VALU_DEP_3)
	v_fma_f64 v[13:14], v[11:12], v[17:18], v[4:5]
	v_fma_f64 v[17:18], v[11:12], v[17:18], -v[4:5]
	v_fma_f64 v[19:20], v[2:3], 0.5, v[6:7]
	v_fma_f64 v[6:7], v[2:3], 0.5, -v[6:7]
	s_delay_alu instid0(VALU_DEP_4) | instskip(NEXT) | instid1(VALU_DEP_4)
	v_fma_f64 v[4:5], -v[15:16], v[8:9], v[13:14]
	v_fma_f64 v[8:9], -v[15:16], v[8:9], v[17:18]
	s_delay_alu instid0(VALU_DEP_4) | instskip(NEXT) | instid1(VALU_DEP_4)
	v_fma_f64 v[2:3], v[11:12], v[15:16], v[19:20]
	v_fma_f64 v[6:7], -v[11:12], v[15:16], v[6:7]
	ds_store_b128 v134, v[2:5] offset:3328
	ds_store_b128 v10, v[6:9] offset:5824
	v_cmpx_gt_u32_e32 26, v58
	s_cbranch_execz .LBB0_25
; %bb.24:
	global_load_b128 v[0:3], v[0:1], off offset:4160
	ds_load_b128 v[4:7], v134 offset:4160
	ds_load_b128 v[11:14], v10 offset:4992
	s_wait_dscnt 0x0
	v_add_f64_e64 v[8:9], v[4:5], -v[11:12]
	v_add_f64_e32 v[15:16], v[6:7], v[13:14]
	v_add_f64_e64 v[6:7], v[6:7], -v[13:14]
	v_add_f64_e32 v[4:5], v[4:5], v[11:12]
	s_delay_alu instid0(VALU_DEP_4) | instskip(NEXT) | instid1(VALU_DEP_4)
	v_mul_f64_e32 v[8:9], 0.5, v[8:9]
	v_mul_f64_e32 v[13:14], 0.5, v[15:16]
	s_delay_alu instid0(VALU_DEP_4) | instskip(SKIP_1) | instid1(VALU_DEP_3)
	v_mul_f64_e32 v[6:7], 0.5, v[6:7]
	s_wait_loadcnt 0x0
	v_mul_f64_e32 v[11:12], v[8:9], v[2:3]
	s_delay_alu instid0(VALU_DEP_2) | instskip(SKIP_1) | instid1(VALU_DEP_3)
	v_fma_f64 v[15:16], v[13:14], v[2:3], v[6:7]
	v_fma_f64 v[2:3], v[13:14], v[2:3], -v[6:7]
	v_fma_f64 v[6:7], v[4:5], 0.5, v[11:12]
	v_fma_f64 v[11:12], v[4:5], 0.5, -v[11:12]
	s_delay_alu instid0(VALU_DEP_4) | instskip(NEXT) | instid1(VALU_DEP_4)
	v_fma_f64 v[4:5], -v[0:1], v[8:9], v[15:16]
	v_fma_f64 v[8:9], -v[0:1], v[8:9], v[2:3]
	s_delay_alu instid0(VALU_DEP_4) | instskip(NEXT) | instid1(VALU_DEP_4)
	v_fma_f64 v[2:3], v[13:14], v[0:1], v[6:7]
	v_fma_f64 v[6:7], -v[13:14], v[0:1], v[11:12]
	ds_store_b128 v134, v[2:5] offset:4160
	ds_store_b128 v10, v[6:9] offset:4992
.LBB0_25:
	s_wait_alu 0xfffe
	s_or_b32 exec_lo, exec_lo, s1
	global_wb scope:SCOPE_SE
	s_wait_dscnt 0x0
	s_barrier_signal -1
	s_barrier_wait -1
	global_inv scope:SCOPE_SE
	s_and_saveexec_b32 s0, vcc_lo
	s_cbranch_execz .LBB0_28
; %bb.26:
	v_mul_lo_u32 v2, s3, v60
	v_mul_lo_u32 v3, s2, v61
	v_mad_co_u64_u32 v[0:1], null, s2, v60, 0
	v_lshl_add_u32 v31, v58, 4, 0
	v_dual_mov_b32 v59, 0 :: v_dual_add_nc_u32 v12, 52, v58
	v_lshlrev_b64_e32 v[10:11], 4, v[56:57]
	v_add_nc_u32_e32 v26, 0x138, v58
	v_add_nc_u32_e32 v24, 0x104, v58
	v_add3_u32 v1, v1, v3, v2
	ds_load_b128 v[2:5], v31
	ds_load_b128 v[6:9], v31 offset:832
	v_mov_b32_e32 v13, v59
	v_lshlrev_b64_e32 v[14:15], 4, v[58:59]
	v_mov_b32_e32 v25, v59
	v_lshlrev_b64_e32 v[0:1], 4, v[0:1]
	v_dual_mov_b32 v27, v59 :: v_dual_add_nc_u32 v30, 0x208, v58
	s_delay_alu instid0(VALU_DEP_3) | instskip(NEXT) | instid1(VALU_DEP_3)
	v_lshlrev_b64_e32 v[24:25], 4, v[24:25]
	v_add_co_u32 v0, vcc_lo, s6, v0
	s_wait_alu 0xfffd
	s_delay_alu instid0(VALU_DEP_4) | instskip(NEXT) | instid1(VALU_DEP_2)
	v_add_co_ci_u32_e32 v1, vcc_lo, s7, v1, vcc_lo
	v_add_co_u32 v0, vcc_lo, v0, v10
	s_wait_alu 0xfffd
	s_delay_alu instid0(VALU_DEP_2) | instskip(SKIP_1) | instid1(VALU_DEP_3)
	v_add_co_ci_u32_e32 v1, vcc_lo, v1, v11, vcc_lo
	v_lshlrev_b64_e32 v[10:11], 4, v[12:13]
	v_add_co_u32 v12, vcc_lo, v0, v14
	s_wait_alu 0xfffd
	s_delay_alu instid0(VALU_DEP_3) | instskip(SKIP_1) | instid1(VALU_DEP_4)
	v_add_co_ci_u32_e32 v13, vcc_lo, v1, v15, vcc_lo
	v_add_nc_u32_e32 v14, 0x68, v58
	v_add_co_u32 v10, vcc_lo, v0, v10
	v_mov_b32_e32 v15, v59
	s_wait_alu 0xfffd
	v_add_co_ci_u32_e32 v11, vcc_lo, v1, v11, vcc_lo
	s_wait_dscnt 0x1
	global_store_b128 v[12:13], v[2:5], off
	s_wait_dscnt 0x0
	global_store_b128 v[10:11], v[6:9], off
	v_add_nc_u32_e32 v10, 0x9c, v58
	v_lshlrev_b64_e32 v[2:3], 4, v[14:15]
	v_dual_mov_b32 v11, v59 :: v_dual_add_nc_u32 v12, 0xd0, v58
	v_mov_b32_e32 v13, v59
	s_delay_alu instid0(VALU_DEP_3) | instskip(SKIP_1) | instid1(VALU_DEP_4)
	v_add_co_u32 v18, vcc_lo, v0, v2
	s_wait_alu 0xfffd
	v_add_co_ci_u32_e32 v19, vcc_lo, v1, v3, vcc_lo
	ds_load_b128 v[2:5], v31 offset:1664
	ds_load_b128 v[6:9], v31 offset:2496
	v_lshlrev_b64_e32 v[20:21], 4, v[10:11]
	v_lshlrev_b64_e32 v[22:23], 4, v[12:13]
	ds_load_b128 v[10:13], v31 offset:3328
	ds_load_b128 v[14:17], v31 offset:4160
	v_add_co_u32 v20, vcc_lo, v0, v20
	s_wait_alu 0xfffd
	v_add_co_ci_u32_e32 v21, vcc_lo, v1, v21, vcc_lo
	v_add_co_u32 v22, vcc_lo, v0, v22
	s_wait_alu 0xfffd
	v_add_co_ci_u32_e32 v23, vcc_lo, v1, v23, vcc_lo
	;; [unrolled: 3-line block ×3, first 2 shown]
	s_wait_dscnt 0x3
	global_store_b128 v[18:19], v[2:5], off
	s_wait_dscnt 0x2
	global_store_b128 v[20:21], v[6:9], off
	;; [unrolled: 2-line block ×4, first 2 shown]
	v_dual_mov_b32 v11, v59 :: v_dual_add_nc_u32 v10, 0x16c, v58
	v_add_nc_u32_e32 v12, 0x1a0, v58
	v_lshlrev_b64_e32 v[2:3], 4, v[26:27]
	v_dual_mov_b32 v13, v59 :: v_dual_add_nc_u32 v18, 0x1d4, v58
	s_delay_alu instid0(VALU_DEP_4) | instskip(SKIP_1) | instid1(VALU_DEP_4)
	v_lshlrev_b64_e32 v[10:11], 4, v[10:11]
	v_mov_b32_e32 v19, v59
	v_add_co_u32 v22, vcc_lo, v0, v2
	s_wait_alu 0xfffd
	v_add_co_ci_u32_e32 v23, vcc_lo, v1, v3, vcc_lo
	s_delay_alu instid0(VALU_DEP_4)
	v_add_co_u32 v24, vcc_lo, v0, v10
	ds_load_b128 v[2:5], v31 offset:4992
	ds_load_b128 v[6:9], v31 offset:5824
	s_wait_alu 0xfffd
	v_add_co_ci_u32_e32 v25, vcc_lo, v1, v11, vcc_lo
	v_lshlrev_b64_e32 v[26:27], 4, v[12:13]
	ds_load_b128 v[10:13], v31 offset:6656
	ds_load_b128 v[14:17], v31 offset:7488
	v_lshlrev_b64_e32 v[28:29], 4, v[18:19]
	ds_load_b128 v[18:21], v31 offset:8320
	v_mov_b32_e32 v31, v59
	v_add_co_u32 v26, vcc_lo, v0, v26
	s_wait_alu 0xfffd
	v_add_co_ci_u32_e32 v27, vcc_lo, v1, v27, vcc_lo
	s_delay_alu instid0(VALU_DEP_3) | instskip(SKIP_3) | instid1(VALU_DEP_3)
	v_lshlrev_b64_e32 v[30:31], 4, v[30:31]
	v_add_co_u32 v28, vcc_lo, v0, v28
	s_wait_alu 0xfffd
	v_add_co_ci_u32_e32 v29, vcc_lo, v1, v29, vcc_lo
	v_add_co_u32 v30, vcc_lo, v0, v30
	s_wait_alu 0xfffd
	v_add_co_ci_u32_e32 v31, vcc_lo, v1, v31, vcc_lo
	v_cmp_eq_u32_e32 vcc_lo, 51, v58
	s_wait_dscnt 0x4
	global_store_b128 v[22:23], v[2:5], off
	s_wait_dscnt 0x3
	global_store_b128 v[24:25], v[6:9], off
	s_wait_dscnt 0x2
	global_store_b128 v[26:27], v[10:13], off
	s_wait_dscnt 0x1
	global_store_b128 v[28:29], v[14:17], off
	s_wait_dscnt 0x0
	global_store_b128 v[30:31], v[18:21], off
	s_and_b32 exec_lo, exec_lo, vcc_lo
	s_cbranch_execz .LBB0_28
; %bb.27:
	ds_load_b128 v[2:5], v59 offset:9152
	s_wait_dscnt 0x0
	global_store_b128 v[0:1], v[2:5], off offset:9152
.LBB0_28:
	s_nop 0
	s_sendmsg sendmsg(MSG_DEALLOC_VGPRS)
	s_endpgm
	.section	.rodata,"a",@progbits
	.p2align	6, 0x0
	.amdhsa_kernel fft_rtc_fwd_len572_factors_13_11_4_wgs_52_tpt_52_dp_op_CI_CI_unitstride_sbrr_R2C_dirReg
		.amdhsa_group_segment_fixed_size 0
		.amdhsa_private_segment_fixed_size 0
		.amdhsa_kernarg_size 104
		.amdhsa_user_sgpr_count 2
		.amdhsa_user_sgpr_dispatch_ptr 0
		.amdhsa_user_sgpr_queue_ptr 0
		.amdhsa_user_sgpr_kernarg_segment_ptr 1
		.amdhsa_user_sgpr_dispatch_id 0
		.amdhsa_user_sgpr_private_segment_size 0
		.amdhsa_wavefront_size32 1
		.amdhsa_uses_dynamic_stack 0
		.amdhsa_enable_private_segment 0
		.amdhsa_system_sgpr_workgroup_id_x 1
		.amdhsa_system_sgpr_workgroup_id_y 0
		.amdhsa_system_sgpr_workgroup_id_z 0
		.amdhsa_system_sgpr_workgroup_info 0
		.amdhsa_system_vgpr_workitem_id 0
		.amdhsa_next_free_vgpr 239
		.amdhsa_next_free_sgpr 44
		.amdhsa_reserve_vcc 1
		.amdhsa_float_round_mode_32 0
		.amdhsa_float_round_mode_16_64 0
		.amdhsa_float_denorm_mode_32 3
		.amdhsa_float_denorm_mode_16_64 3
		.amdhsa_fp16_overflow 0
		.amdhsa_workgroup_processor_mode 1
		.amdhsa_memory_ordered 1
		.amdhsa_forward_progress 0
		.amdhsa_round_robin_scheduling 0
		.amdhsa_exception_fp_ieee_invalid_op 0
		.amdhsa_exception_fp_denorm_src 0
		.amdhsa_exception_fp_ieee_div_zero 0
		.amdhsa_exception_fp_ieee_overflow 0
		.amdhsa_exception_fp_ieee_underflow 0
		.amdhsa_exception_fp_ieee_inexact 0
		.amdhsa_exception_int_div_zero 0
	.end_amdhsa_kernel
	.text
.Lfunc_end0:
	.size	fft_rtc_fwd_len572_factors_13_11_4_wgs_52_tpt_52_dp_op_CI_CI_unitstride_sbrr_R2C_dirReg, .Lfunc_end0-fft_rtc_fwd_len572_factors_13_11_4_wgs_52_tpt_52_dp_op_CI_CI_unitstride_sbrr_R2C_dirReg
                                        ; -- End function
	.section	.AMDGPU.csdata,"",@progbits
; Kernel info:
; codeLenInByte = 10508
; NumSgprs: 46
; NumVgprs: 239
; ScratchSize: 0
; MemoryBound: 0
; FloatMode: 240
; IeeeMode: 1
; LDSByteSize: 0 bytes/workgroup (compile time only)
; SGPRBlocks: 5
; VGPRBlocks: 29
; NumSGPRsForWavesPerEU: 46
; NumVGPRsForWavesPerEU: 239
; Occupancy: 6
; WaveLimiterHint : 1
; COMPUTE_PGM_RSRC2:SCRATCH_EN: 0
; COMPUTE_PGM_RSRC2:USER_SGPR: 2
; COMPUTE_PGM_RSRC2:TRAP_HANDLER: 0
; COMPUTE_PGM_RSRC2:TGID_X_EN: 1
; COMPUTE_PGM_RSRC2:TGID_Y_EN: 0
; COMPUTE_PGM_RSRC2:TGID_Z_EN: 0
; COMPUTE_PGM_RSRC2:TIDIG_COMP_CNT: 0
	.text
	.p2alignl 7, 3214868480
	.fill 96, 4, 3214868480
	.type	__hip_cuid_849eb628b41dacc9,@object ; @__hip_cuid_849eb628b41dacc9
	.section	.bss,"aw",@nobits
	.globl	__hip_cuid_849eb628b41dacc9
__hip_cuid_849eb628b41dacc9:
	.byte	0                               ; 0x0
	.size	__hip_cuid_849eb628b41dacc9, 1

	.ident	"AMD clang version 19.0.0git (https://github.com/RadeonOpenCompute/llvm-project roc-6.4.0 25133 c7fe45cf4b819c5991fe208aaa96edf142730f1d)"
	.section	".note.GNU-stack","",@progbits
	.addrsig
	.addrsig_sym __hip_cuid_849eb628b41dacc9
	.amdgpu_metadata
---
amdhsa.kernels:
  - .args:
      - .actual_access:  read_only
        .address_space:  global
        .offset:         0
        .size:           8
        .value_kind:     global_buffer
      - .offset:         8
        .size:           8
        .value_kind:     by_value
      - .actual_access:  read_only
        .address_space:  global
        .offset:         16
        .size:           8
        .value_kind:     global_buffer
      - .actual_access:  read_only
        .address_space:  global
        .offset:         24
        .size:           8
        .value_kind:     global_buffer
      - .actual_access:  read_only
        .address_space:  global
        .offset:         32
        .size:           8
        .value_kind:     global_buffer
      - .offset:         40
        .size:           8
        .value_kind:     by_value
      - .actual_access:  read_only
        .address_space:  global
        .offset:         48
        .size:           8
        .value_kind:     global_buffer
      - .actual_access:  read_only
        .address_space:  global
        .offset:         56
        .size:           8
        .value_kind:     global_buffer
      - .offset:         64
        .size:           4
        .value_kind:     by_value
      - .actual_access:  read_only
        .address_space:  global
        .offset:         72
        .size:           8
        .value_kind:     global_buffer
      - .actual_access:  read_only
        .address_space:  global
        .offset:         80
        .size:           8
        .value_kind:     global_buffer
      - .actual_access:  read_only
        .address_space:  global
        .offset:         88
        .size:           8
        .value_kind:     global_buffer
      - .actual_access:  write_only
        .address_space:  global
        .offset:         96
        .size:           8
        .value_kind:     global_buffer
    .group_segment_fixed_size: 0
    .kernarg_segment_align: 8
    .kernarg_segment_size: 104
    .language:       OpenCL C
    .language_version:
      - 2
      - 0
    .max_flat_workgroup_size: 52
    .name:           fft_rtc_fwd_len572_factors_13_11_4_wgs_52_tpt_52_dp_op_CI_CI_unitstride_sbrr_R2C_dirReg
    .private_segment_fixed_size: 0
    .sgpr_count:     46
    .sgpr_spill_count: 0
    .symbol:         fft_rtc_fwd_len572_factors_13_11_4_wgs_52_tpt_52_dp_op_CI_CI_unitstride_sbrr_R2C_dirReg.kd
    .uniform_work_group_size: 1
    .uses_dynamic_stack: false
    .vgpr_count:     239
    .vgpr_spill_count: 0
    .wavefront_size: 32
    .workgroup_processor_mode: 1
amdhsa.target:   amdgcn-amd-amdhsa--gfx1201
amdhsa.version:
  - 1
  - 2
...

	.end_amdgpu_metadata
